;; amdgpu-corpus repo=ROCm/rocm-libraries kind=harvested arch=n/a opt=n/a
/*******************************************************************************
 *
 * MIT License
 *
 * Copyright (c) 2020-2021 Advanced Micro Devices, Inc.
 *
 * Permission is hereby granted, free of charge, to any person obtaining a copy
 * of this software and associated documentation files (the "Software"), to deal
 * in the Software without restriction, including without limitation the rights
 * to use, copy, modify, merge, publish, distribute, sublicense, and/or sell
 * copies of the Software, and to permit persons to whom the Software is
 * furnished to do so, subject to the following conditions:
 *
 * The above copyright notice and this permission notice shall be included in all
 * copies or substantial portions of the Software.
 *
 * THE SOFTWARE IS PROVIDED "AS IS", WITHOUT WARRANTY OF ANY KIND, EXPRESS OR
 * IMPLIED, INCLUDING BUT NOT LIMITED TO THE WARRANTIES OF MERCHANTABILITY,
 * FITNESS FOR A PARTICULAR PURPOSE AND NONINFRINGEMENT. IN NO EVENT SHALL THE
 * AUTHORS OR COPYRIGHT HOLDERS BE LIABLE FOR ANY CLAIM, DAMAGES OR OTHER
 * LIABILITY, WHETHER IN AN ACTION OF CONTRACT, TORT OR OTHERWISE, ARISING FROM,
 * OUT OF OR IN CONNECTION WITH THE SOFTWARE OR THE USE OR OTHER DEALINGS IN THE
 * SOFTWARE.
 *
 *******************************************************************************/
; generated by igemm_codegen.py (fd9e198935dd7d73a99f57d1fda6c3c7b012dd23)
;
.include "igemm_wrw_gtcx3_nhwc_fp16_utils.inc"

;----------------------------------------------------------
; starting of kernel igemm_wrw_gtcx3_nhwc_fp16_bx0_ex0_bt128x256x16_wt32x32x8_ws1x2_wr2x2_ta1x4x1x2_1x4x1x64_tb1x4x1x4_1x4x1x64_gkgs
; tensor_layout              : 'nhwc'
; gemm_m_per_block           : 128
; gemm_n_per_block           : 256
; gemm_k_per_block           : 16
; wave_tile_m                : 32
; wave_step_m                : 1
; wave_repeat_m              : 2
; wave_tile_n                : 32
; wave_step_n                : 2
; wave_repeat_n              : 2
; wave_tile_k                : 8
; tensor_a_thread_lengths    : [1, 4, 1, 2]
; tensor_a_cluster_lengths   : [1, 4, 1, 64]
; tensor_b_thread_lengths    : [1, 4, 1, 4]
; tensor_b_cluster_lengths   : [1, 4, 1, 64]
; direction                  : 'wrw'
; precision                  : 'fp16'
; nxb                        : 0
; nxe                        : 0
; gemm_k_global_split        : 1
; vector_c                   : 1
; 
; block_size                 : 256
; lds_total                  : 32768
; lds_buffer_num             : 2
; 
.set k_p_in, 0
.set k_p_wei, 8
.set k_p_out, 16
.set k_hi, 24
.set k_wi, 28
.set k_n, 32
.set k_k, 36
.set k_c, 40
.set k_ho, 44
.set k_wo, 48
.set k_stride_h, 52
.set k_stride_w, 56
.set k_dilation_h, 60
.set k_dilation_w, 64
.set k_pad_h, 68
.set k_pad_w, 72
.set k_y, 76
.set k_x, 80
.set k_gemm_k_global_split, 84
.set k_group, 88
.set k_pack_0, 92
.set k_end, 96

.set s_ka, 0
.set s_bx, 2
.set s_by, 3
.set s_bz, 4
.set s_p_in, 8
.set s_p_wei, 12
.set s_p_out, 16
.set s_hi, 20
.set s_wi, 21
.set s_n, 22
.set s_k, 23
.set s_c, 24
.set s_ho, 25
.set s_wo, 26
.set s_stride_h, 27
.set s_stride_w, 28
.set s_dilation_h, 29
.set s_dilation_w, 30
.set s_pad_h, 31
.set s_pad_w, 32
.set s_y, 33
.set s_x, 34
.set s_gemmk_split, 35
.set s_group, 36
.set s_gemmk_per_wg, 37
.set s_ho_x_stride_h, 38
.set s_wo_x_stride_w, 39
.set s_in_stride_wi, 40
.set s_in_stride_hi, 41
.set s_in_stride_n, 42
.set s_out_stride_wo, 43
.set s_out_stride_ho, 44
.set s_out_stride_n, 45
.set s_wei_stride_k, 46
.set s_ec_padded, 47
.set s_in_stride_n_n, 48
.set s_out_stride_n_n, 49
.set s_move_slice_n, 50
.set s_move_slice_n_dsho, 51
.set s_move_slice_n_dswo, 52
.set s_dim_b, 53
.set s_block_gtc_ie, 54
.set s_block_gtc_ik, 55
.set s_block_gtc_iec, 56
.set s_block_gtc_in, 57
.set s_block_gtc_ig, 58
.set s_knum, 1
.set s_gemm_k_num_n1, 0
.set s_gemm_k_num_dsho, 59
.set s_gemm_k_num_dswo, 60
.set s_kitr, 3
.set s_in_offset, 61
.set s_out_offset, 63
.set s_sub_n, 65
.set s_in_stride_move_n, 66
.set s_out_stride_move_n, 67
.set s_k_padded, 68
.set s_c_padded, 69
.set s_out_move_step, 70
.set s_in_move_step, 71
.set s_tmp, 72
.set s_end, 78

.set v_c, 0  ; coalescing:64, needed:20, resuable:45
.set v_a, 20
.set v_b, 28
.set v_gld_a, 44
.set v_gld_b, 48
.set v_sst_a_os, 56
.set v_sst_b_os, 57
.set v_sld_a_os, 58
.set v_sld_b_os, 59
.set v_in_os, 60
.set v_in_os_base, 61
.set v_gtc_in, 62
.set v_out_os, 63
.set v_out_os_base, 64
.set v_co_sst, 65
.set v_co_sld, 66
.set v_wei_os, 67
.set v_wei_c_flag, 68
.set v_gtc_iec, 69
.set v_wei_ie, 70
.set v_gtc_ic, 71
.set v_gtc_ie, 72
.set v_gtc_ik, 73
.set v_gtc_inb_a, 74
.set v_gemm_in, 75
.set v_gemm_im, 76
.set v_wei_ic, 77
.set v_wei_iec, 78
.set v_co_sub_m_index, 79
.set v_co_sub_n_index, 80
.set v_cur_k, 81
.set v_tmp, 82
.set v_end, 220

.set a_c, 92
.set a_end, 220

.text
.globl igemm_wrw_gtcx3_nhwc_fp16_bx0_ex0_bt128x256x16_wt32x32x8_ws1x2_wr2x2_ta1x4x1x2_1x4x1x64_tb1x4x1x4_1x4x1x64_gkgs
.p2align 8
.type igemm_wrw_gtcx3_nhwc_fp16_bx0_ex0_bt128x256x16_wt32x32x8_ws1x2_wr2x2_ta1x4x1x2_1x4x1x64_tb1x4x1x4_1x4x1x64_gkgs,@function
igemm_wrw_gtcx3_nhwc_fp16_bx0_ex0_bt128x256x16_wt32x32x8_ws1x2_wr2x2_ta1x4x1x2_1x4x1x64_tb1x4x1x4_1x4x1x64_gkgs:
    s_load_dwordx2  s[s_p_in+0:s_p_in+1],       s[s_ka+0:s_ka+1],    0+k_p_in
    s_load_dwordx2  s[s_p_wei+0:s_p_wei+1],      s[s_ka+0:s_ka+1],    0+k_p_wei
    s_load_dwordx2  s[s_p_out+0:s_p_out+1],      s[s_ka+0:s_ka+1],    0+k_p_out
    s_load_dwordx16 s[s_hi+0:s_hi+15],        s[s_ka+0:s_ka+1],    0+k_hi
    s_load_dwordx2  s[s_group+0:s_group+1],      s[s_ka+0:s_ka+1],    0+k_group

    ; input, thread(1,nb,1,c): 1x4x1x4, cluster(1,nb,1,ec): 1x4x1x64
    v_mov_b32 v[v_tmp], v0
    v_and_b32 v[v_gtc_iec], 63, v[v_tmp]
    v_lshlrev_b32 v[v_gtc_iec], 2, v[v_gtc_iec]
    v_lshrrev_b32 v[v_tmp], 6, v[v_tmp]
    v_and_b32 v[v_gtc_inb_a], 3, v[v_tmp]
    v_lshlrev_b32 v[v_gtc_inb_a], 2, v[v_gtc_inb_a]

    ; output, thread(1,nb,1,k): 1x4x1x2, cluster(1,nb,1,k) 1x4x1x64
    v_mov_b32 v[v_tmp], v0
    v_and_b32 v[v_gtc_ik], 63, v[v_tmp]
    v_lshlrev_b32 v[v_gtc_ik], 1, v[v_gtc_ik]

    s_mov_b32 s[s_p_in+3], 0x27000
    s_mov_b32 s[s_p_wei+2], 0xffffffff
    s_mov_b32 s[s_p_wei+3], 0x27000
    s_mov_b32 s[s_p_out+3], 0x27000
    s_waitcnt lgkmcnt(0)

    ; calculate index
    ; s_lshr_b32 s[s_sub_n], s[s_n], s[s_gemmk_split]
    s_mul_i32 s[s_in_stride_wi], s[s_c], s[s_group]
    s_mul_i32 s[s_tmp+2], s[s_wi], s[s_in_stride_wi]
    s_mul_i32 s[s_in_stride_n], s[s_hi], s[s_tmp+2]
    s_mov_b32 s[s_wei_stride_k], s[s_c]
    s_mul_i32 s[s_out_stride_wo], s[s_k], s[s_group]
    s_mul_i32 s[s_tmp+2], s[s_wo], s[s_out_stride_wo]
    s_mul_i32 s[s_out_stride_n], s[s_ho], s[s_tmp+2]
    s_mul_i32 s[s_dim_b], s[s_ho], s[s_wo]
    s_mul_i32  s[s_tmp], s[s_n], s[s_in_stride_n]
    s_mul_i32  s[s_tmp+1], s[s_n], s[s_out_stride_n]
    s_lshl_b32 s[s_tmp+4], s[s_tmp], 1
    s_lshl_b32 s[s_tmp+5], s[s_tmp+1], 1
    s_mul_i32 s[s_tmp], s[s_by], s[s_tmp+4]
    s_mul_hi_u32 s[s_tmp+1], s[s_by], s[s_tmp+4]
    s_add_u32 s[s_p_in], s[s_p_in], s[s_tmp]
    s_addc_u32 s[s_p_in+1], s[s_p_in+1], s[s_tmp+1]
    s_mul_i32 s[s_tmp], s[s_by], s[s_tmp+5]
    s_mul_hi_u32 s[s_tmp+1], s[s_by], s[s_tmp+5]
    s_add_u32 s[s_p_out], s[s_p_out], s[s_tmp]
    s_addc_u32 s[s_p_out+1], s[s_p_out+1], s[s_tmp+1]
    ; compute start point
    s_mul_i32 s[s_sub_n], s[s_bz], s[s_gemmk_per_wg]
    v_add_u32 v[v_gtc_inb_a], v[v_gtc_inb_a], s[s_sub_n]
    ; pad gemm_m if needed
    s_add_u32 s[s_tmp], 127, s[s_k]
    s_lshr_b32 s[s_tmp], s[s_tmp], 7
    s_lshl_b32 s[s_k_padded], s[s_tmp], 7
    ; pad c for 1x1 cases
    s_add_u32 s[s_tmp], 255, s[s_c]
    s_lshr_b32 s[s_tmp], s[s_tmp], 8
    s_lshl_b32 s[s_c_padded], s[s_tmp], 8

    ; add block i_n
    ; gemm_m_per_block:128, gemm_n_per_block:256
    s_lshr_b32 s[0], s[s_c_padded], 8
    s_lshr_b32 s[s_tmp], s[s_k_padded], 7
    s_mul_i32 s[1], s[0], s[s_tmp]
    ;s_lshl_b32 s[s_tmp+3], 1, s[s_gemmk_split]
    ;s_sub_u32 s[s_tmp+3], s[s_tmp+3], 1
    ;s_and_b32 s[s_block_gtc_in], s[s_bx], s[s_tmp+3]
    ;s_mul_i32 s[s_block_gtc_in], s[s_block_gtc_in], s[s_sub_n]
    ;s_lshr_b32 s[s_bx], s[s_bx], s[s_gemmk_split]
    .v_u32_div_rem_ss s_tmp+4, s_block_gtc_ig, s_bx, 1, v_tmp+5, v_tmp, s_tmp
    s_mov_b32 s[s_bx], s[s_tmp+4]
    .v_u32_div_rem_ss s_tmp+4, s_tmp+5, s_bx, 0, v_tmp+5, v_tmp, s_tmp
    ; s_tmp+4:block_gtc_in, s_tmp+5:block_gtc_im
    s_lshl_b32 s[s_block_gtc_ik], s[s_tmp+5], 7
    s_lshl_b32 s[s_block_gtc_iec], s[s_tmp+4], 8

    ; config for output and input range
    s_mul_i32 s[s_p_out+2], s[s_n], s[s_out_stride_n]
    s_lshl_b32 s[s_p_out+2], s[s_p_out+2], 1
    s_mul_i32 s[s_p_in+2], s[s_n], s[s_in_stride_n]
    s_lshl_b32 s[s_p_in+2], s[s_p_in+2], 1
    v_add_u32 v[v_gtc_ic], s[s_block_gtc_iec], v[v_gtc_iec]
    ; calculate input offset
    s_lshl_b32 s[s_block_gtc_ig], s[s_block_gtc_ig], 1
    s_mul_i32 s[s_tmp], s[s_block_gtc_ig], s[s_c]
    s_sub_u32 s[s_p_in+2], s[s_p_in+2], s[s_tmp]
    s_add_u32 s[s_p_in], s[s_p_in], s[s_tmp]

    v_mul_lo_u32 v[v_tmp], v[v_gtc_inb_a], s[s_in_stride_wi]
    v_add_lshl_u32 v[v_in_os], v[v_tmp], v[v_gtc_ic], 1

    s_lshl_b32 s[s_in_stride_wi], s[s_in_stride_wi], 1

    s_mul_i32 s[s_tmp], s[s_in_stride_wi], 2
    s_mov_b32 s[s_in_offset+0], s[s_tmp]
    s_mul_i32 s[s_tmp], s[s_in_stride_wi], 3
    s_mov_b32 s[s_in_offset+1], s[s_tmp]
    ; load input
    buffer_load_dwordx2 v[v_gld_b+0:v_gld_b+0+1], v[v_in_os], s[s_p_in:s_p_in+3], 0 offen offset:0
    buffer_load_dwordx2 v[v_gld_b+2:v_gld_b+2+1], v[v_in_os], s[s_p_in:s_p_in+3], s[s_in_stride_wi] offen offset:0
    buffer_load_dwordx2 v[v_gld_b+4:v_gld_b+4+1], v[v_in_os], s[s_p_in:s_p_in+3], s[s_in_offset+0] offen offset:0
    buffer_load_dwordx2 v[v_gld_b+6:v_gld_b+6+1], v[v_in_os], s[s_p_in:s_p_in+3], s[s_in_offset+1] offen offset:0

    ; calculate out offset
    s_mul_i32 s[s_tmp], s[s_block_gtc_ig], s[s_k]
    s_sub_u32 s[s_p_out+2], s[s_p_out+2], s[s_tmp]
    s_add_u32 s[s_p_out], s[s_p_out], s[s_tmp]

    v_add_u32 v[v_cur_k], s[s_block_gtc_ik], v[v_gtc_ik]
    ;s_mul_i32 s[s_tmp], s[s_out_stride_n], s[s_block_gtc_in]
    ;v_add_lshl_u32 v[v_tmp+1], v[v_cur_k], s[s_tmp], 1
    v_mul_lo_u32 v[v_tmp], v[v_gtc_inb_a], s[s_out_stride_wo]
    v_add_lshl_u32 v[v_out_os], v[v_tmp], v[v_cur_k], 1

    s_lshl_b32 s[s_out_stride_wo], s[s_out_stride_wo], 1

    s_mul_i32 s[s_tmp], s[s_out_stride_wo], 2
    s_mov_b32 s[s_out_offset+0], s[s_tmp]
    s_mul_i32 s[s_tmp], s[s_out_stride_wo], 3
    s_mov_b32 s[s_out_offset+1], s[s_tmp]
    ; load output
    buffer_load_dword v[v_gld_a+0], v[v_out_os], s[s_p_out:s_p_out+3], 0 offen offset:0
    buffer_load_dword v[v_gld_a+1], v[v_out_os], s[s_p_out:s_p_out+3], s[s_out_stride_wo] offen offset:0
    buffer_load_dword v[v_gld_a+2], v[v_out_os], s[s_p_out:s_p_out+3], s[s_out_offset+0] offen offset:0
    buffer_load_dword v[v_gld_a+3], v[v_out_os], s[s_p_out:s_p_out+3], s[s_out_offset+1] offen offset:0

    v_mov_b32 v[v_tmp+5], v0
    ; xdlops mapping, get source matrix gemm index, k_pack:4, v_pack:1, k_pack_per_thread:1
    v_and_b32 v[v_gemm_in], 31, v[v_tmp+5]           ; block_n index 
    v_and_b32 v[v_gemm_im], 31, v[v_tmp+5]           ; block_m index 
    v_lshlrev_b32 v[v_gemm_in], 2, v[v_gemm_in]   ; shift left k_pack:4
    v_lshlrev_b32 v[v_gemm_im], 2, v[v_gemm_im]   ; shift left k_pack:4
    v_lshrrev_b32 v[v_tmp+5], 5, v[v_tmp+5]
    v_and_b32 v[v_tmp + 0], 1, v[v_tmp+5]          ; block_k_per_wave index
    v_and_b32 v[v_tmp + 1], 0, v[v_tmp + 0]   ; and k_pack_per_thread:1
    v_lshrrev_b32 v[v_tmp + 0], 0, v[v_tmp + 0] ; shift right k_pack_per_thread:1
    v_lshl_or_b32 v[v_gemm_in],  v[v_tmp + 1], 2, v[v_gemm_in]  ; or lanegroup_k_per_thread:4
    v_lshl_or_b32 v[v_gemm_im],  v[v_tmp + 1], 2, v[v_gemm_im]  ; or lanegroup_k_per_thread:4
    v_lshl_or_b32 v[v_gemm_in], v[v_tmp + 0], 10, v[v_gemm_in]
    v_lshl_or_b32 v[v_gemm_im], v[v_tmp + 0], 9, v[v_gemm_im]
    v_lshrrev_b32 v[v_tmp+5], 1, v[v_tmp+5]
    v_and_b32 v[v_tmp + 2], 1, v[v_tmp+5]  ; waves_per_n index
    v_lshl_or_b32 v[v_gemm_in], v[v_tmp + 2], 8, v[v_gemm_in]
    v_lshrrev_b32 v[v_tmp+5], 1, v[v_tmp+5]
    v_and_b32 v[v_tmp + 3], 1, v[v_tmp+5]  ; waves_per_m index
    v_lshl_or_b32 v[v_gemm_im], v[v_tmp + 3], 7, v[v_gemm_im]

    v_mov_b32 v[v_tmp+5], v0
    ; xdlops mapping, get dst matrix gemm index
    v_and_b32 v[v_tmp+0], 31, v[v_tmp+5]
    v_lshrrev_b32 v[v_tmp+5], 5, v[v_tmp+5]
    v_and_b32 v[v_tmp+1], 1, v[v_tmp+5]
    v_lshrrev_b32 v[v_tmp+5], 1, v[v_tmp+5]
    v_mov_b32 v[v_co_sst], v[v_tmp+0]
    v_lshlrev_b32 v[v_co_sld], 2, v[v_tmp+1]
    v_and_b32 v[v_tmp+0], 1, v[v_tmp+5]
    v_lshrrev_b32 v[v_tmp+5], 1, v[v_tmp+5]
    v_and_b32 v[v_tmp+1], 1, v[v_tmp+5]
    v_lshl_or_b32 v[v_co_sst], v[v_tmp+0], 6, v[v_co_sst]
    v_lshl_or_b32 v[v_co_sld], v[v_tmp+1], 5, v[v_co_sld]

    ; LDS store, in: 1,nb,1,ec: 1x4x1x4, 1x4x1x64
    v_sub_i32 v[v_gtc_inb_a], v[v_gtc_inb_a], s[s_sub_n]
    v_lshlrev_b32 v[v_tmp+2], 2,  v[v_gtc_iec]
    v_lshrrev_b32 v[v_tmp+1], 2,  v[v_gtc_inb_a]
    v_lshl_add_u32 v[v_tmp], v[v_tmp+1], 10, v[v_tmp+2]
    v_and_b32 v[v_tmp+2], 0, v[v_gtc_inb_a]
    v_lshl_or_b32 v[v_tmp], v[v_tmp+2], 2, v[v_tmp]
    v_lshlrev_b32 v[v_sst_b_os], 1, v[v_tmp]
    v_add_u32 v[v_sst_b_os], 4096, v[v_sst_b_os]

    ; LDS store, out: 1,nb,1,k: 1x4x1x2, 1x4x1x64
    v_lshlrev_b32 v[v_tmp+2], 2,  v[v_gtc_ik]
    v_lshrrev_b32 v[v_tmp+1], 2,  v[v_gtc_inb_a]
    v_lshl_add_u32 v[v_tmp], v[v_tmp+1], 9, v[v_tmp+2]
    v_and_b32 v[v_tmp+2], 0, v[v_gtc_inb_a]
    v_lshl_or_b32 v[v_tmp], v[v_tmp+2], 2, v[v_tmp]
    v_lshlrev_b32 v[v_sst_a_os], 1, v[v_tmp]

    ; LDS load
    v_lshlrev_b32 v[v_sld_b_os], 1, v[v_gemm_in]
    v_lshlrev_b32 v[v_sld_a_os], 1, v[v_gemm_im]
    v_add_u32 v[v_sld_b_os], 4096, v[v_sld_b_os]

    v_mov_b32 v[v_gemm_in], v[v_co_sst]
    v_mov_b32 v[v_gemm_im], v[v_co_sld]
    ; init_co_lds_offset for xdlops
    v_lshrrev_b32 v[v_tmp], 2, v[v_gemm_im]
    v_and_b32 v[v_tmp],  1, v[v_tmp]   ; thread id of lanegroup_m_per_cluster
    v_lshlrev_b32 v[v_co_sst], 2, v[v_tmp]
    v_lshrrev_b32 v[v_tmp+2], 5, v[v_gemm_im]  ; thread id of waves_per_m
    v_lshl_or_b32 v[v_co_sst], v[v_tmp+2], 5, v[v_co_sst]
    v_lshl_or_b32 v[v_co_sst], v[v_co_sst], 8, v[v_gemm_in]
    v_lshlrev_b32 v[v_co_sst], 1, v[v_co_sst]
    v_lshlrev_b32 v[v_co_sld], 2, v[0]
    ; init_co_sub_m_index xdlops, block_size:256, macro-tile:128x256 sub_m_index:[0, 1]
    ; g_mr:2, g_ms:1, g_mw:1, g_mb:1, g_mt:1 | l_mr:1, l_ms:1, l_mw:1, l_mb:4, l_mt:4 | n_mc:2, n_ml:1, n_mv:2
    ; nd_stride:[4, 2, 1, 4, 1, 1, 2, 1]
    v_lshlrev_b32 v[v_tmp], 1, v[0]
    v_lshrrev_b32 v[v_co_sub_m_index], 8, v[v_tmp]  ; get tid along m
    v_and_b32 v[v_tmp+0], 3, v[v_co_sub_m_index]                   ; => x_mt
    v_mov_b32 v[v_co_sub_m_index], v[v_tmp+0]      ; => accumulate x_mt
    ; init_co_sub_n_index xdlops
    v_lshlrev_b32 v[v_tmp], 1, v[0]
    v_and_b32 v[v_co_sub_n_index], 255, v[v_tmp]

    ; weight offset
    s_mul_i32 s[s_tmp+2], s[s_k], s[s_wei_stride_k]
    s_mul_i32 s[s_tmp], s[s_block_gtc_ig], s[s_tmp+2]
    s_mul_hi_u32 s[s_tmp+1], s[s_block_gtc_ig], s[s_tmp+2]
    s_add_u32 s[s_p_wei], s[s_p_wei], s[s_tmp]
    s_addc_u32 s[s_p_wei+1], s[s_p_wei+1], s[s_tmp+1]

    s_lshl_b32 s[s_tmp+3], s[s_block_gtc_ik], 1
    s_mul_i32 s[s_tmp], s[s_wei_stride_k], s[s_tmp+3]
    s_mul_hi_u32 s[s_tmp+1], s[s_wei_stride_k], s[s_tmp+3]
    s_add_u32 s[s_p_wei], s[s_p_wei], s[s_tmp]
    s_addc_u32 s[s_p_wei+1], s[s_p_wei+1], s[s_tmp+1]

    ; compute v_co_sub_n_index along ec : 256
    v_and_b32 v[v_wei_iec], 255, v[v_co_sub_n_index]     ; => EC

    ; compute wei_ic and set wei_flag
    v_add_u32 v[v_wei_ic], v[v_wei_iec], s[s_block_gtc_iec]
    v_cmp_gt_u32 vcc, s[s_c], v[v_wei_ic]
    v_cndmask_b32 v[v_wei_c_flag],  0, 1, vcc
    ; compute wei offset
    v_mov_b32 v[v_wei_os], v[v_wei_ic]
    ; add i_k
    v_mul_lo_u32 v[v_tmp], s[s_wei_stride_k], v[v_co_sub_m_index]
    v_add_u32 v[v_wei_os], v[v_wei_os], v[v_tmp]
    v_lshlrev_b32 v[v_wei_os], 1, v[v_wei_os]
    ; move slice step for output tensor
    s_mul_i32 s[s_tmp], s[s_k], s[s_group]
    s_mul_i32 s[s_tmp+1], s[s_c], s[s_group]
    s_lshl_b32 s[s_out_move_step], s[s_tmp], 5
    s_lshl_b32 s[s_in_move_step], s[s_tmp+1], 5
    ; move slice stride
    s_lshl_b32 s[s_wei_stride_k], s[s_wei_stride_k], 1
    s_add_i32 s[s_knum], s[s_gemmk_per_wg], 15
    s_lshr_b32 s[s_knum], s[s_knum], 4
    s_lshl_b32 s[s_knum], s[s_knum], 4

    ; start MFMA loop, 32x32 wave tile with 2x2 repeat, 1x2 step, k_pack:4
    s_waitcnt vmcnt(4)
    v_pack_b32_f16 v[v_tmp], v[v_gld_b], v[v_gld_b+2]
    v_pack_b32_f16 v[v_tmp+1], v[v_gld_b+4], v[v_gld_b+6]
    v_pack_b32_f16 v[v_tmp+2], v[v_gld_b], v[v_gld_b+2] op_sel:[1, 1]
    v_pack_b32_f16 v[v_tmp+3], v[v_gld_b+4], v[v_gld_b+6] op_sel:[1, 1]
    ds_write_b128 v[v_sst_b_os], v[v_tmp:v_tmp+3] 
    v_pack_b32_f16 v[v_tmp], v[v_gld_b+1], v[v_gld_b+3]
    v_pack_b32_f16 v[v_tmp+1], v[v_gld_b+5], v[v_gld_b+7]
    v_pack_b32_f16 v[v_tmp+2], v[v_gld_b+1], v[v_gld_b+3] op_sel:[1, 1]
    v_pack_b32_f16 v[v_tmp+3], v[v_gld_b+5], v[v_gld_b+7] op_sel:[1, 1]
    ds_write_b128 v[v_sst_b_os], v[v_tmp:v_tmp+3] offset:16

    s_waitcnt vmcnt(0)
    v_pack_b32_f16 v[v_tmp], v[v_gld_a], v[v_gld_a+1]
    v_pack_b32_f16 v[v_tmp+1], v[v_gld_a+2], v[v_gld_a+3]
    v_pack_b32_f16 v[v_tmp+2], v[v_gld_a], v[v_gld_a+1] op_sel:[1, 1]
    v_pack_b32_f16 v[v_tmp+3], v[v_gld_a+2], v[v_gld_a+3] op_sel:[1, 1]
    ds_write_b128 v[v_sst_a_os], v[v_tmp:v_tmp+3] 

    .v_clear_nc a_c, 128
    ; make sure acc WAR harzard, at least 1 nop for src_c
    s_sub_i32 s[s_kitr], s[s_knum], 16
    s_cmp_gt_i32 s[s_kitr], 0
    s_cbranch_scc0 L_igemm_wrw_gtcx3_nhwc_fp16_bx0_ex0_bt128x256x16_wt32x32x8_ws1x2_wr2x2_ta1x4x1x2_1x4x1x64_tb1x4x1x4_1x4x1x64_gkgs_mfma_end

    v_xor_b32 v[v_sst_b_os], 0x4000, v[v_sst_b_os] ; switch double buffer b store
    v_xor_b32 v[v_sst_a_os], 0x4000, v[v_sst_a_os] ; switch double buffer a store
    v_add_u32 v[v_in_os], v[v_in_os], s[s_in_move_step]
    v_add_u32 v[v_out_os], v[v_out_os], s[s_out_move_step]
L_igemm_wrw_gtcx3_nhwc_fp16_bx0_ex0_bt128x256x16_wt32x32x8_ws1x2_wr2x2_ta1x4x1x2_1x4x1x64_tb1x4x1x4_1x4x1x64_gkgs_mfma_body:
    ; load input
    buffer_load_dwordx2 v[v_gld_b+0:v_gld_b+0+1], v[v_in_os], s[s_p_in:s_p_in+3], 0 offen offset:0
    buffer_load_dwordx2 v[v_gld_b+2:v_gld_b+2+1], v[v_in_os], s[s_p_in:s_p_in+3], s[s_in_stride_wi] offen offset:0
    buffer_load_dwordx2 v[v_gld_b+4:v_gld_b+4+1], v[v_in_os], s[s_p_in:s_p_in+3], s[s_in_offset+0] offen offset:0
    buffer_load_dwordx2 v[v_gld_b+6:v_gld_b+6+1], v[v_in_os], s[s_p_in:s_p_in+3], s[s_in_offset+1] offen offset:0
    ; load output
    buffer_load_dword v[v_gld_a+0], v[v_out_os], s[s_p_out:s_p_out+3], 0 offen offset:0
    buffer_load_dword v[v_gld_a+1], v[v_out_os], s[s_p_out:s_p_out+3], s[s_out_stride_wo] offen offset:0
    buffer_load_dword v[v_gld_a+2], v[v_out_os], s[s_p_out:s_p_out+3], s[s_out_offset+0] offen offset:0
    buffer_load_dword v[v_gld_a+3], v[v_out_os], s[s_p_out:s_p_out+3], s[s_out_offset+1] offen offset:0
    ; do fma accumulate with unroll 16
    s_waitcnt lgkmcnt(0)
    s_barrier

    ds_read_b64 v[v_a:v_a+1], v[v_sld_a_os] offset:0
    ds_read2_b64 v[v_b+0:v_b+3], v[v_sld_b_os], offset0:0, offset1:32
    ds_read2_b64 v[v_b+4+0:v_b+4+3], v[v_sld_b_os], offset0:128, offset1:160
    ds_read_b64 v[v_a+2:v_a+2+1], v[v_sld_a_os] offset:512
    s_waitcnt lgkmcnt(2)
    v_mfma_f32_32x32x8f16 v[a_c+0:a_c+15], v[v_a+0:v_a+1], v[v_b+0:v_b+1], v[a_c+0:a_c+15]     ; repeat:0x0, step:0x0, num_a_c:16
    v_add_u32 v[v_in_os], v[v_in_os], s[s_in_move_step]
    v_mfma_f32_32x32x8f16 v[a_c+16:a_c+31], v[v_a+0:v_a+1], v[v_b+2:v_b+3], v[a_c+16:a_c+31]     ; repeat:0x0, step:0x1, num_a_c:16
    v_add_u32 v[v_out_os], v[v_out_os], s[s_out_move_step]
    ds_read_b64 v[v_a+4:v_a+4+1], v[v_sld_a_os] offset:2048 ; load i_k:1 into local buffer 1, repeat 0
    v_add_u32 v[v_tmp+5], 4096, v[v_sld_b_os]
    ds_read2_b64 v[v_b+8+0:v_b+8+3], v[v_tmp+5], offset0:0, offset1:32 ; load i_k:1 into local buffer 1, repeat 0
    s_waitcnt lgkmcnt(3)
    v_mfma_f32_32x32x8f16 v[a_c+32:a_c+47], v[v_a+0:v_a+1], v[v_b+4:v_b+5], v[a_c+32:a_c+47]     ; repeat:0x1, step:0x0, num_a_c:16
    
    v_mfma_f32_32x32x8f16 v[a_c+48:a_c+63], v[v_a+0:v_a+1], v[v_b+6:v_b+7], v[a_c+48:a_c+63]     ; repeat:0x1, step:0x1, num_a_c:16
    
    ds_read2_b64 v[v_b+12+0:v_b+12+3], v[v_tmp+5], offset0:128, offset1:160 ; load i_k:1 into local buffer 1, repeat 1
    ds_read_b64 v[v_a+6:v_a+6+1], v[v_sld_a_os] offset:2560 ; load i_k:1 into local buffer 1, repeat 1
    s_waitcnt lgkmcnt(4)
    v_mfma_f32_32x32x8f16 v[a_c+64:a_c+79], v[v_a+2:v_a+3], v[v_b+0:v_b+1], v[a_c+64:a_c+79]     ; repeat:1x0, step:0x0, num_a_c:16
    
    v_mfma_f32_32x32x8f16 v[a_c+80:a_c+95], v[v_a+2:v_a+3], v[v_b+2:v_b+3], v[a_c+80:a_c+95]     ; repeat:1x0, step:0x1, num_a_c:16
    
    v_mfma_f32_32x32x8f16 v[a_c+96:a_c+111], v[v_a+2:v_a+3], v[v_b+4:v_b+5], v[a_c+96:a_c+111]     ; repeat:1x1, step:0x0, num_a_c:16
    
    v_mfma_f32_32x32x8f16 v[a_c+112:a_c+127], v[v_a+2:v_a+3], v[v_b+6:v_b+7], v[a_c+112:a_c+127]     ; repeat:1x1, step:0x1, num_a_c:16
    
    s_waitcnt lgkmcnt(2)
    v_mfma_f32_32x32x8f16 v[a_c+0:a_c+15], v[v_a+4:v_a+5], v[v_b+8:v_b+9], v[a_c+0:a_c+15]     ; repeat:0x0, step:0x0, num_a_c:16
    
    v_mfma_f32_32x32x8f16 v[a_c+16:a_c+31], v[v_a+4:v_a+5], v[v_b+10:v_b+11], v[a_c+16:a_c+31]     ; repeat:0x0, step:0x1, num_a_c:16
    
    s_waitcnt lgkmcnt(1)
    v_mfma_f32_32x32x8f16 v[a_c+32:a_c+47], v[v_a+4:v_a+5], v[v_b+12:v_b+13], v[a_c+32:a_c+47]     ; repeat:0x1, step:0x0, num_a_c:16
    
    v_mfma_f32_32x32x8f16 v[a_c+48:a_c+63], v[v_a+4:v_a+5], v[v_b+14:v_b+15], v[a_c+48:a_c+63]     ; repeat:0x1, step:0x1, num_a_c:16
    
    ; k iteration : 0
    s_waitcnt lgkmcnt(0)
    s_waitcnt vmcnt(4)
    v_pack_b32_f16 v[v_tmp], v[v_gld_b], v[v_gld_b+2]
    v_pack_b32_f16 v[v_tmp+1], v[v_gld_b+4], v[v_gld_b+6]
    v_pack_b32_f16 v[v_tmp+2], v[v_gld_b], v[v_gld_b+2] op_sel:[1, 1]
    v_pack_b32_f16 v[v_tmp+3], v[v_gld_b+4], v[v_gld_b+6] op_sel:[1, 1]
    ds_write_b128 v[v_sst_b_os], v[v_tmp:v_tmp+3]
    v_mfma_f32_32x32x8f16 v[a_c+64:a_c+79], v[v_a+6:v_a+7], v[v_b+8:v_b+9], v[a_c+64:a_c+79]     ; repeat:1x0, step:0x0, num_a_c:16
    v_pack_b32_f16 v[v_tmp], v[v_gld_b+1], v[v_gld_b+3]
    v_pack_b32_f16 v[v_tmp+1], v[v_gld_b+5], v[v_gld_b+7]
    v_pack_b32_f16 v[v_tmp+2], v[v_gld_b+1], v[v_gld_b+3] op_sel:[1, 1]
    v_pack_b32_f16 v[v_tmp+3], v[v_gld_b+5], v[v_gld_b+7] op_sel:[1, 1]
    ds_write_b128 v[v_sst_b_os], v[v_tmp:v_tmp+3] offset:16
    v_mfma_f32_32x32x8f16 v[a_c+80:a_c+95], v[v_a+6:v_a+7], v[v_b+10:v_b+11], v[a_c+80:a_c+95]     ; repeat:1x0, step:0x1, num_a_c:16
    s_waitcnt vmcnt(0)
    v_pack_b32_f16 v[v_tmp], v[v_gld_a], v[v_gld_a+1]
    v_pack_b32_f16 v[v_tmp+1], v[v_gld_a+2], v[v_gld_a+3]
    v_pack_b32_f16 v[v_tmp+2], v[v_gld_a], v[v_gld_a+1] op_sel:[1, 1]
    v_pack_b32_f16 v[v_tmp+3], v[v_gld_a+2], v[v_gld_a+3] op_sel:[1, 1]
    ds_write_b128 v[v_sst_a_os], v[v_tmp:v_tmp+3]
    v_mfma_f32_32x32x8f16 v[a_c+96:a_c+111], v[v_a+6:v_a+7], v[v_b+12:v_b+13], v[a_c+96:a_c+111]     ; repeat:1x1, step:0x0, num_a_c:16
    v_mfma_f32_32x32x8f16 v[a_c+112:a_c+127], v[v_a+6:v_a+7], v[v_b+14:v_b+15], v[a_c+112:a_c+127]     ; repeat:1x1, step:0x1, num_a_c:16
    v_xor_b32 v[v_sld_b_os], 16384, v[v_sld_b_os] ; switch double buffer b load
    v_xor_b32 v[v_sld_a_os], 16384, v[v_sld_a_os] ; switch double buffer a load
    s_sub_i32 s[s_kitr], s[s_kitr], 16
    s_cmp_gt_i32 s[s_kitr], 0
    s_cbranch_scc0 L_igemm_wrw_gtcx3_nhwc_fp16_bx0_ex0_bt128x256x16_wt32x32x8_ws1x2_wr2x2_ta1x4x1x2_1x4x1x64_tb1x4x1x4_1x4x1x64_gkgs_mfma_end
    v_xor_b32 v[v_sst_b_os], 16384, v[v_sst_b_os] ; switch double buffer b store
    v_xor_b32 v[v_sst_a_os], 16384, v[v_sst_a_os] ; switch double buffer a store
    s_branch L_igemm_wrw_gtcx3_nhwc_fp16_bx0_ex0_bt128x256x16_wt32x32x8_ws1x2_wr2x2_ta1x4x1x2_1x4x1x64_tb1x4x1x4_1x4x1x64_gkgs_mfma_body
L_igemm_wrw_gtcx3_nhwc_fp16_bx0_ex0_bt128x256x16_wt32x32x8_ws1x2_wr2x2_ta1x4x1x2_1x4x1x64_tb1x4x1x4_1x4x1x64_gkgs_mfma_end:
    s_waitcnt lgkmcnt(0)
    s_barrier
    ds_read_b64 v[v_a:v_a+1], v[v_sld_a_os] offset:0
    ds_read2_b64 v[v_b+0:v_b+3], v[v_sld_b_os], offset0:0, offset1:32
    ds_read2_b64 v[v_b+4+0:v_b+4+3], v[v_sld_b_os], offset0:128, offset1:160
    ds_read_b64 v[v_a+2:v_a+2+1], v[v_sld_a_os] offset:512
    ; k iteration : 0
    s_waitcnt lgkmcnt(2)
    v_mfma_f32_32x32x8f16 v[a_c+0:a_c+15], v[v_a+0:v_a+1], v[v_b+0:v_b+1], v[a_c+0:a_c+15]     ; repeat:0x0, step:0x0, num_a_c:16
    v_mfma_f32_32x32x8f16 v[a_c+16:a_c+31], v[v_a+0:v_a+1], v[v_b+2:v_b+3], v[a_c+16:a_c+31]     ; repeat:0x0, step:0x1, num_a_c:16
    ds_read_b64 v[v_a+4:v_a+4+1], v[v_sld_a_os] offset:2048 ; load i_k:1 into local buffer 1, repeat 0
    v_add_u32 v[v_tmp+5], 4096, v[v_sld_b_os]
    ds_read2_b64 v[v_b+8+0:v_b+8+3], v[v_tmp+5], offset0:0, offset1:32 ; load i_k:1 into local buffer 1, repeat 0

    s_waitcnt lgkmcnt(3)
    v_mfma_f32_32x32x8f16 v[a_c+32:a_c+47], v[v_a+0:v_a+1], v[v_b+4:v_b+5], v[a_c+32:a_c+47]     ; repeat:0x1, step:0x0, num_a_c:16
    v_mfma_f32_32x32x8f16 v[a_c+48:a_c+63], v[v_a+0:v_a+1], v[v_b+6:v_b+7], v[a_c+48:a_c+63]     ; repeat:0x1, step:0x1, num_a_c:16
    ds_read2_b64 v[v_b+12+0:v_b+12+3], v[v_tmp+5], offset0:128, offset1:160 ; load i_k:1 into local buffer 1, repeat 1
    ds_read_b64 v[v_a+6:v_a+6+1], v[v_sld_a_os] offset:2560 ; load i_k:1 into local buffer 1, repeat 1

    s_waitcnt lgkmcnt(4)
    v_mfma_f32_32x32x8f16 v[a_c+64:a_c+79], v[v_a+2:v_a+3], v[v_b+0:v_b+1], v[a_c+64:a_c+79]     ; repeat:1x0, step:0x0, num_a_c:16
    v_mfma_f32_32x32x8f16 v[a_c+80:a_c+95], v[v_a+2:v_a+3], v[v_b+2:v_b+3], v[a_c+80:a_c+95]     ; repeat:1x0, step:0x1, num_a_c:16

    v_mfma_f32_32x32x8f16 v[a_c+96:a_c+111], v[v_a+2:v_a+3], v[v_b+4:v_b+5], v[a_c+96:a_c+111]     ; repeat:1x1, step:0x0, num_a_c:16
    v_mfma_f32_32x32x8f16 v[a_c+112:a_c+127], v[v_a+2:v_a+3], v[v_b+6:v_b+7], v[a_c+112:a_c+127]     ; repeat:1x1, step:0x1, num_a_c:16

    s_waitcnt lgkmcnt(2)
    v_mfma_f32_32x32x8f16 v[a_c+0:a_c+15], v[v_a+4:v_a+5], v[v_b+8:v_b+9], v[a_c+0:a_c+15]     ; repeat:0x0, step:0x0, num_a_c:16
    v_mfma_f32_32x32x8f16 v[a_c+16:a_c+31], v[v_a+4:v_a+5], v[v_b+10:v_b+11], v[a_c+16:a_c+31]     ; repeat:0x0, step:0x1, num_a_c:16

    s_waitcnt lgkmcnt(1)
    v_mfma_f32_32x32x8f16 v[a_c+32:a_c+47], v[v_a+4:v_a+5], v[v_b+12:v_b+13], v[a_c+32:a_c+47]     ; repeat:0x1, step:0x0, num_a_c:16
    v_mfma_f32_32x32x8f16 v[a_c+48:a_c+63], v[v_a+4:v_a+5], v[v_b+14:v_b+15], v[a_c+48:a_c+63]     ; repeat:0x1, step:0x1, num_a_c:16

    s_waitcnt lgkmcnt(0)
    v_mfma_f32_32x32x8f16 v[a_c+64:a_c+79], v[v_a+6:v_a+7], v[v_b+8:v_b+9], v[a_c+64:a_c+79]     ; repeat:1x0, step:0x0, num_a_c:16
    v_mfma_f32_32x32x8f16 v[a_c+80:a_c+95], v[v_a+6:v_a+7], v[v_b+10:v_b+11], v[a_c+80:a_c+95]     ; repeat:1x0, step:0x1, num_a_c:16

    v_mfma_f32_32x32x8f16 v[a_c+96:a_c+111], v[v_a+6:v_a+7], v[v_b+12:v_b+13], v[a_c+96:a_c+111]     ; repeat:1x1, step:0x0, num_a_c:16
    v_mfma_f32_32x32x8f16 v[a_c+112:a_c+127], v[v_a+6:v_a+7], v[v_b+14:v_b+15], v[a_c+112:a_c+127]     ; repeat:1x1, step:0x1, num_a_c:16

    s_nop 15
    s_nop 2
    ; coalescing store, mapping:mt_m:128, mt_n:256, wt_m:32, wt_n:32, ws:4, r_m:2, r_n:2, s_m:1, s_n:2 | 32x32x8, lanegroup_m_tcbw:4x2x4x1, lanegroup_n_tcbw:1x32x1x1
    ; coalescing_groups:2, num_dword_per_group:64
    ; init_co_sub_m_index xdlops, block_size:256, macro-tile:128x256 sub_m_index:[0, 1]
    ; g_mr:2, g_ms:1, g_mw:1, g_mb:1, g_mt:1 | l_mr:1, l_ms:1, l_mw:1, l_mb:4, l_mt:4 | n_mc:2, n_ml:1, n_mv:2
    ; nd_stride:[2, 1, 4, 1, 1, 2, 1]
    ; start group 0, i_g_mr:0, i_g_ms:0, i_g_mw:0, i_g_mb:0, i_g_mt:0, m index start from 0
    s_barrier
    v_cvt_f16_f32_e32 v[v_c], v[a_c]
    v_cvt_f16_f32_e32 v[v_c+1], v[a_c+1]
    v_cvt_f16_f32_e32 v[v_c+2], v[a_c+2]
    v_cvt_f16_f32_e32 v[v_c+3], v[a_c+3]
    ds_write_b16 v[v_co_sst], v[v_c]  ; idword:0(0,0), 0x0, i_mr:0, i_ms:0, i_mw:0, i_mb:0  x  i_nr:0, i_ns:0, i_nw:0
    ds_write_b16 v[v_co_sst], v[v_c+1] offset:512 ; idword:0(0,0), 0x0, i_mr:0, i_ms:0, i_mw:0, i_mb:0  x  i_nr:0, i_ns:0, i_nw:0
    ds_write_b16 v[v_co_sst], v[v_c+2] offset:1024 ; idword:0(0,0), 0x0, i_mr:0, i_ms:0, i_mw:0, i_mb:0  x  i_nr:0, i_ns:0, i_nw:0
    ds_write_b16 v[v_co_sst], v[v_c+3] offset:1536 ; idword:0(0,0), 0x0, i_mr:0, i_ms:0, i_mw:0, i_mb:0  x  i_nr:0, i_ns:0, i_nw:0
    v_cvt_f16_f32_e32 v[v_c+4], v[a_c+16]
    v_cvt_f16_f32_e32 v[v_c+5], v[a_c+17]
    v_cvt_f16_f32_e32 v[v_c+6], v[a_c+18]
    v_cvt_f16_f32_e32 v[v_c+7], v[a_c+19]
    ds_write_b16 v[v_co_sst], v[v_c+4] offset:64 ; idword:32(0,32), 0x32, i_mr:0, i_ms:0, i_mw:0, i_mb:0  x  i_nr:0, i_ns:1, i_nw:0
    ds_write_b16 v[v_co_sst], v[v_c+5] offset:576 ; idword:32(0,32), 0x32, i_mr:0, i_ms:0, i_mw:0, i_mb:0  x  i_nr:0, i_ns:1, i_nw:0
    ds_write_b16 v[v_co_sst], v[v_c+6] offset:1088 ; idword:32(0,32), 0x32, i_mr:0, i_ms:0, i_mw:0, i_mb:0  x  i_nr:0, i_ns:1, i_nw:0
    ds_write_b16 v[v_co_sst], v[v_c+7] offset:1600 ; idword:32(0,32), 0x32, i_mr:0, i_ms:0, i_mw:0, i_mb:0  x  i_nr:0, i_ns:1, i_nw:0
    v_cvt_f16_f32_e32 v[v_c+8], v[a_c+32]
    v_cvt_f16_f32_e32 v[v_c+9], v[a_c+33]
    v_cvt_f16_f32_e32 v[v_c+10], v[a_c+34]
    v_cvt_f16_f32_e32 v[v_c+11], v[a_c+35]
    ds_write_b16 v[v_co_sst], v[v_c+8] offset:256 ; idword:128(0,128), 0x128, i_mr:0, i_ms:0, i_mw:0, i_mb:0  x  i_nr:1, i_ns:0, i_nw:0
	;; [unrolled: 8-line block ×3, first 2 shown]
    ds_write_b16 v[v_co_sst], v[v_c+13] offset:832 ; idword:160(0,160), 0x160, i_mr:0, i_ms:0, i_mw:0, i_mb:0  x  i_nr:1, i_ns:1, i_nw:0
    ds_write_b16 v[v_co_sst], v[v_c+14] offset:1344 ; idword:160(0,160), 0x160, i_mr:0, i_ms:0, i_mw:0, i_mb:0  x  i_nr:1, i_ns:1, i_nw:0
	;; [unrolled: 1-line block ×3, first 2 shown]
    v_cvt_f16_f32_e32 v[v_c], v[a_c+4]
    v_cvt_f16_f32_e32 v[v_c+1], v[a_c+5]
    v_cvt_f16_f32_e32 v[v_c+2], v[a_c+6]
	;; [unrolled: 1-line block ×3, first 2 shown]
    ds_write_b16 v[v_co_sst], v[v_c] offset:4096 ; idword:2048(8,0), 8x0, i_mr:0, i_ms:0, i_mw:0, i_mb:1  x  i_nr:0, i_ns:0, i_nw:0
    ds_write_b16 v[v_co_sst], v[v_c+1] offset:4608 ; idword:2048(8,0), 8x0, i_mr:0, i_ms:0, i_mw:0, i_mb:1  x  i_nr:0, i_ns:0, i_nw:0
    ds_write_b16 v[v_co_sst], v[v_c+2] offset:5120 ; idword:2048(8,0), 8x0, i_mr:0, i_ms:0, i_mw:0, i_mb:1  x  i_nr:0, i_ns:0, i_nw:0
	;; [unrolled: 1-line block ×3, first 2 shown]
    v_cvt_f16_f32_e32 v[v_c+4], v[a_c+20]
    v_cvt_f16_f32_e32 v[v_c+5], v[a_c+21]
	;; [unrolled: 1-line block ×4, first 2 shown]
    ds_write_b16 v[v_co_sst], v[v_c+4] offset:4160 ; idword:2080(8,32), 8x32, i_mr:0, i_ms:0, i_mw:0, i_mb:1  x  i_nr:0, i_ns:1, i_nw:0
    ds_write_b16 v[v_co_sst], v[v_c+5] offset:4672 ; idword:2080(8,32), 8x32, i_mr:0, i_ms:0, i_mw:0, i_mb:1  x  i_nr:0, i_ns:1, i_nw:0
	;; [unrolled: 1-line block ×4, first 2 shown]
    v_cvt_f16_f32_e32 v[v_c+8], v[a_c+36]
    v_cvt_f16_f32_e32 v[v_c+9], v[a_c+37]
	;; [unrolled: 1-line block ×4, first 2 shown]
    ds_write_b16 v[v_co_sst], v[v_c+8] offset:4352 ; idword:2176(8,128), 8x128, i_mr:0, i_ms:0, i_mw:0, i_mb:1  x  i_nr:1, i_ns:0, i_nw:0
    ds_write_b16 v[v_co_sst], v[v_c+9] offset:4864 ; idword:2176(8,128), 8x128, i_mr:0, i_ms:0, i_mw:0, i_mb:1  x  i_nr:1, i_ns:0, i_nw:0
	;; [unrolled: 1-line block ×4, first 2 shown]
    v_cvt_f16_f32_e32 v[v_c+12], v[a_c+52]
    v_cvt_f16_f32_e32 v[v_c+13], v[a_c+53]
	;; [unrolled: 1-line block ×4, first 2 shown]
    ds_write_b16 v[v_co_sst], v[v_c+12] offset:4416 ; idword:2208(8,160), 8x160, i_mr:0, i_ms:0, i_mw:0, i_mb:1  x  i_nr:1, i_ns:1, i_nw:0
    ds_write_b16 v[v_co_sst], v[v_c+13] offset:4928 ; idword:2208(8,160), 8x160, i_mr:0, i_ms:0, i_mw:0, i_mb:1  x  i_nr:1, i_ns:1, i_nw:0
	;; [unrolled: 1-line block ×4, first 2 shown]
    v_cvt_f16_f32_e32 v[v_c], v[a_c+8]
    v_cvt_f16_f32_e32 v[v_c+1], v[a_c+9]
    v_cvt_f16_f32_e32 v[v_c+2], v[a_c+10]
	;; [unrolled: 1-line block ×3, first 2 shown]
    ds_write_b16 v[v_co_sst], v[v_c] offset:8192 ; idword:4096(16,0), 16x0, i_mr:0, i_ms:0, i_mw:0, i_mb:2  x  i_nr:0, i_ns:0, i_nw:0
    ds_write_b16 v[v_co_sst], v[v_c+1] offset:8704 ; idword:4096(16,0), 16x0, i_mr:0, i_ms:0, i_mw:0, i_mb:2  x  i_nr:0, i_ns:0, i_nw:0
    ds_write_b16 v[v_co_sst], v[v_c+2] offset:9216 ; idword:4096(16,0), 16x0, i_mr:0, i_ms:0, i_mw:0, i_mb:2  x  i_nr:0, i_ns:0, i_nw:0
	;; [unrolled: 1-line block ×3, first 2 shown]
    v_cvt_f16_f32_e32 v[v_c+4], v[a_c+24]
    v_cvt_f16_f32_e32 v[v_c+5], v[a_c+25]
	;; [unrolled: 1-line block ×4, first 2 shown]
    ds_write_b16 v[v_co_sst], v[v_c+4] offset:8256 ; idword:4128(16,32), 16x32, i_mr:0, i_ms:0, i_mw:0, i_mb:2  x  i_nr:0, i_ns:1, i_nw:0
    ds_write_b16 v[v_co_sst], v[v_c+5] offset:8768 ; idword:4128(16,32), 16x32, i_mr:0, i_ms:0, i_mw:0, i_mb:2  x  i_nr:0, i_ns:1, i_nw:0
	;; [unrolled: 1-line block ×4, first 2 shown]
    v_cvt_f16_f32_e32 v[v_c+8], v[a_c+40]
    v_cvt_f16_f32_e32 v[v_c+9], v[a_c+41]
	;; [unrolled: 1-line block ×4, first 2 shown]
    ds_write_b16 v[v_co_sst], v[v_c+8] offset:8448 ; idword:4224(16,128), 16x128, i_mr:0, i_ms:0, i_mw:0, i_mb:2  x  i_nr:1, i_ns:0, i_nw:0
    ds_write_b16 v[v_co_sst], v[v_c+9] offset:8960 ; idword:4224(16,128), 16x128, i_mr:0, i_ms:0, i_mw:0, i_mb:2  x  i_nr:1, i_ns:0, i_nw:0
	;; [unrolled: 1-line block ×4, first 2 shown]
    v_cvt_f16_f32_e32 v[v_c+12], v[a_c+56]
    v_cvt_f16_f32_e32 v[v_c+13], v[a_c+57]
	;; [unrolled: 1-line block ×4, first 2 shown]
    ds_write_b16 v[v_co_sst], v[v_c+12] offset:8512 ; idword:4256(16,160), 16x160, i_mr:0, i_ms:0, i_mw:0, i_mb:2  x  i_nr:1, i_ns:1, i_nw:0
    ds_write_b16 v[v_co_sst], v[v_c+13] offset:9024 ; idword:4256(16,160), 16x160, i_mr:0, i_ms:0, i_mw:0, i_mb:2  x  i_nr:1, i_ns:1, i_nw:0
	;; [unrolled: 1-line block ×4, first 2 shown]
    v_cvt_f16_f32_e32 v[v_c], v[a_c+12]
    v_cvt_f16_f32_e32 v[v_c+1], v[a_c+13]
    v_cvt_f16_f32_e32 v[v_c+2], v[a_c+14]
	;; [unrolled: 1-line block ×3, first 2 shown]
    ds_write_b16 v[v_co_sst], v[v_c] offset:12288 ; idword:6144(24,0), 24x0, i_mr:0, i_ms:0, i_mw:0, i_mb:3  x  i_nr:0, i_ns:0, i_nw:0
    ds_write_b16 v[v_co_sst], v[v_c+1] offset:12800 ; idword:6144(24,0), 24x0, i_mr:0, i_ms:0, i_mw:0, i_mb:3  x  i_nr:0, i_ns:0, i_nw:0
    ds_write_b16 v[v_co_sst], v[v_c+2] offset:13312 ; idword:6144(24,0), 24x0, i_mr:0, i_ms:0, i_mw:0, i_mb:3  x  i_nr:0, i_ns:0, i_nw:0
    ds_write_b16 v[v_co_sst], v[v_c+3] offset:13824 ; idword:6144(24,0), 24x0, i_mr:0, i_ms:0, i_mw:0, i_mb:3  x  i_nr:0, i_ns:0, i_nw:0
    v_cvt_f16_f32_e32 v[v_c+4], v[a_c+28]
    v_cvt_f16_f32_e32 v[v_c+5], v[a_c+29]
	;; [unrolled: 1-line block ×4, first 2 shown]
    ds_write_b16 v[v_co_sst], v[v_c+4] offset:12352 ; idword:6176(24,32), 24x32, i_mr:0, i_ms:0, i_mw:0, i_mb:3  x  i_nr:0, i_ns:1, i_nw:0
    ds_write_b16 v[v_co_sst], v[v_c+5] offset:12864 ; idword:6176(24,32), 24x32, i_mr:0, i_ms:0, i_mw:0, i_mb:3  x  i_nr:0, i_ns:1, i_nw:0
    ds_write_b16 v[v_co_sst], v[v_c+6] offset:13376 ; idword:6176(24,32), 24x32, i_mr:0, i_ms:0, i_mw:0, i_mb:3  x  i_nr:0, i_ns:1, i_nw:0
    ds_write_b16 v[v_co_sst], v[v_c+7] offset:13888 ; idword:6176(24,32), 24x32, i_mr:0, i_ms:0, i_mw:0, i_mb:3  x  i_nr:0, i_ns:1, i_nw:0
    v_cvt_f16_f32_e32 v[v_c+8], v[a_c+44]
    v_cvt_f16_f32_e32 v[v_c+9], v[a_c+45]
	;; [unrolled: 1-line block ×4, first 2 shown]
    ds_write_b16 v[v_co_sst], v[v_c+8] offset:12544 ; idword:6272(24,128), 24x128, i_mr:0, i_ms:0, i_mw:0, i_mb:3  x  i_nr:1, i_ns:0, i_nw:0
    ds_write_b16 v[v_co_sst], v[v_c+9] offset:13056 ; idword:6272(24,128), 24x128, i_mr:0, i_ms:0, i_mw:0, i_mb:3  x  i_nr:1, i_ns:0, i_nw:0
	;; [unrolled: 1-line block ×4, first 2 shown]
    v_cvt_f16_f32_e32 v[v_c+12], v[a_c+60]
    v_cvt_f16_f32_e32 v[v_c+13], v[a_c+61]
	;; [unrolled: 1-line block ×4, first 2 shown]
    ds_write_b16 v[v_co_sst], v[v_c+12] offset:12608 ; idword:6304(24,160), 24x160, i_mr:0, i_ms:0, i_mw:0, i_mb:3  x  i_nr:1, i_ns:1, i_nw:0
    ds_write_b16 v[v_co_sst], v[v_c+13] offset:13120 ; idword:6304(24,160), 24x160, i_mr:0, i_ms:0, i_mw:0, i_mb:3  x  i_nr:1, i_ns:1, i_nw:0
	;; [unrolled: 1-line block ×4, first 2 shown]
    s_mov_b32 s[s_tmp], 0   ; i_m:0(i_m0:0,i_m1:0)
    v_add_u32 v[v_cur_k], s[s_block_gtc_ik], v[v_co_sub_m_index]
    v_mov_b32 v[v_tmp], v[v_cur_k]
    s_waitcnt lgkmcnt(0)
    s_barrier
    ;   load from lds, i_ssgroup:0, num_sld_per_ssgroup:8
    ds_read_b32 v[v_c], v[v_co_sld] offset:0
    ds_read_b32 v[v_c+1], v[v_co_sld] offset:1024
    ds_read_b32 v[v_c+2], v[v_co_sld] offset:2048
	;; [unrolled: 1-line block ×7, first 2 shown]
    v_cmpx_eq_u32 vcc, 1, v[v_wei_c_flag]
    ;   store to global, m index start from 0, m0:0, m1:0
    s_waitcnt lgkmcnt(7)
    v_cmp_gt_u32 vcc, s[s_k], v[v_tmp]
    s_and_saveexec_b64 s[s_tmp+4:s_tmp+5], vcc
    buffer_atomic_pk_add_f16_m v[v_c], v[v_wei_os], s[s_p_wei:s_p_wei+3], s[s_tmp] offen offset:0
    s_or_b64 exec, exec, s[s_tmp+4:s_tmp+5]
    s_mul_i32 s[s_tmp], 2, s[s_wei_stride_k]   ; i_m:2(i_m0:0,i_m1:2)
    v_add_u32 v[v_tmp], 2, v[v_cur_k]
    s_waitcnt lgkmcnt(6)
    v_cmp_gt_u32 vcc, s[s_k], v[v_tmp]
    s_and_saveexec_b64 s[s_tmp+4:s_tmp+5], vcc
    buffer_atomic_pk_add_f16_m v[v_c+1], v[v_wei_os], s[s_p_wei:s_p_wei+3], s[s_tmp] offen offset:0
    s_or_b64 exec, exec, s[s_tmp+4:s_tmp+5]
    s_mul_i32 s[s_tmp], 4, s[s_wei_stride_k]   ; i_m:4(i_m0:0,i_m1:4)
    v_add_u32 v[v_tmp], 4, v[v_cur_k]
    s_waitcnt lgkmcnt(5)
    v_cmp_gt_u32 vcc, s[s_k], v[v_tmp]
    s_and_saveexec_b64 s[s_tmp+4:s_tmp+5], vcc
    buffer_atomic_pk_add_f16_m v[v_c+2], v[v_wei_os], s[s_p_wei:s_p_wei+3], s[s_tmp] offen offset:0
	;; [unrolled: 7-line block ×7, first 2 shown]
    s_or_b64 exec, exec, s[s_tmp+4:s_tmp+5]
    s_mul_i32 s[s_tmp], 16, s[s_wei_stride_k]   ; i_m:16(i_m0:0,i_m1:16)
    v_add_u32 v[v_tmp], 16, v[v_cur_k]
    s_mov_b64 exec, -1
    ;   load from lds, i_ssgroup:1, num_sld_per_ssgroup:8
    ds_read_b32 v[v_c], v[v_co_sld] offset:8192
    ds_read_b32 v[v_c+1], v[v_co_sld] offset:9216
    ds_read_b32 v[v_c+2], v[v_co_sld] offset:10240
	;; [unrolled: 1-line block ×7, first 2 shown]
    v_cmpx_eq_u32 vcc, 1, v[v_wei_c_flag]
    ;   store to global, m index start from 0, m0:0, m1:0
    s_waitcnt lgkmcnt(7)
    v_cmp_gt_u32 vcc, s[s_k], v[v_tmp]
    s_and_saveexec_b64 s[s_tmp+4:s_tmp+5], vcc
    buffer_atomic_pk_add_f16_m v[v_c], v[v_wei_os], s[s_p_wei:s_p_wei+3], s[s_tmp] offen offset:0
    s_or_b64 exec, exec, s[s_tmp+4:s_tmp+5]
    s_mul_i32 s[s_tmp], 18, s[s_wei_stride_k]   ; i_m:18(i_m0:0,i_m1:18)
    v_add_u32 v[v_tmp], 18, v[v_cur_k]
    s_waitcnt lgkmcnt(6)
    v_cmp_gt_u32 vcc, s[s_k], v[v_tmp]
    s_and_saveexec_b64 s[s_tmp+4:s_tmp+5], vcc
    buffer_atomic_pk_add_f16_m v[v_c+1], v[v_wei_os], s[s_p_wei:s_p_wei+3], s[s_tmp] offen offset:0
    s_or_b64 exec, exec, s[s_tmp+4:s_tmp+5]
    s_mul_i32 s[s_tmp], 20, s[s_wei_stride_k]   ; i_m:20(i_m0:0,i_m1:20)
    v_add_u32 v[v_tmp], 20, v[v_cur_k]
    s_waitcnt lgkmcnt(5)
    v_cmp_gt_u32 vcc, s[s_k], v[v_tmp]
    s_and_saveexec_b64 s[s_tmp+4:s_tmp+5], vcc
    buffer_atomic_pk_add_f16_m v[v_c+2], v[v_wei_os], s[s_p_wei:s_p_wei+3], s[s_tmp] offen offset:0
    s_or_b64 exec, exec, s[s_tmp+4:s_tmp+5]
    s_mul_i32 s[s_tmp], 22, s[s_wei_stride_k]   ; i_m:22(i_m0:0,i_m1:22)
    v_add_u32 v[v_tmp], 22, v[v_cur_k]
    s_waitcnt lgkmcnt(4)
    v_cmp_gt_u32 vcc, s[s_k], v[v_tmp]
    s_and_saveexec_b64 s[s_tmp+4:s_tmp+5], vcc
    buffer_atomic_pk_add_f16_m v[v_c+3], v[v_wei_os], s[s_p_wei:s_p_wei+3], s[s_tmp] offen offset:0
    s_or_b64 exec, exec, s[s_tmp+4:s_tmp+5]
    s_mul_i32 s[s_tmp], 24, s[s_wei_stride_k]   ; i_m:24(i_m0:0,i_m1:24)
    v_add_u32 v[v_tmp], 24, v[v_cur_k]
    s_waitcnt lgkmcnt(3)
    v_cmp_gt_u32 vcc, s[s_k], v[v_tmp]
    s_and_saveexec_b64 s[s_tmp+4:s_tmp+5], vcc
    buffer_atomic_pk_add_f16_m v[v_c+4], v[v_wei_os], s[s_p_wei:s_p_wei+3], s[s_tmp] offen offset:0
    s_or_b64 exec, exec, s[s_tmp+4:s_tmp+5]
    s_mul_i32 s[s_tmp], 26, s[s_wei_stride_k]   ; i_m:26(i_m0:0,i_m1:26)
    v_add_u32 v[v_tmp], 26, v[v_cur_k]
    s_waitcnt lgkmcnt(2)
    v_cmp_gt_u32 vcc, s[s_k], v[v_tmp]
    s_and_saveexec_b64 s[s_tmp+4:s_tmp+5], vcc
    buffer_atomic_pk_add_f16_m v[v_c+5], v[v_wei_os], s[s_p_wei:s_p_wei+3], s[s_tmp] offen offset:0
    s_or_b64 exec, exec, s[s_tmp+4:s_tmp+5]
    s_mul_i32 s[s_tmp], 28, s[s_wei_stride_k]   ; i_m:28(i_m0:0,i_m1:28)
    v_add_u32 v[v_tmp], 28, v[v_cur_k]
    s_waitcnt lgkmcnt(1)
    v_cmp_gt_u32 vcc, s[s_k], v[v_tmp]
    s_and_saveexec_b64 s[s_tmp+4:s_tmp+5], vcc
    buffer_atomic_pk_add_f16_m v[v_c+6], v[v_wei_os], s[s_p_wei:s_p_wei+3], s[s_tmp] offen offset:0
    s_or_b64 exec, exec, s[s_tmp+4:s_tmp+5]
    s_mul_i32 s[s_tmp], 30, s[s_wei_stride_k]   ; i_m:30(i_m0:0,i_m1:30)
    v_add_u32 v[v_tmp], 30, v[v_cur_k]
    s_waitcnt lgkmcnt(0)
    v_cmp_gt_u32 vcc, s[s_k], v[v_tmp]
    s_and_saveexec_b64 s[s_tmp+4:s_tmp+5], vcc
    buffer_atomic_pk_add_f16_m v[v_c+7], v[v_wei_os], s[s_p_wei:s_p_wei+3], s[s_tmp] offen offset:0
    s_or_b64 exec, exec, s[s_tmp+4:s_tmp+5]
    s_mul_i32 s[s_tmp], 32, s[s_wei_stride_k]   ; i_m:32(i_m0:0,i_m1:32)
    v_add_u32 v[v_tmp], 32, v[v_cur_k]
    s_mov_b64 exec, -1
    ;   load from lds, i_ssgroup:2, num_sld_per_ssgroup:8
    ds_read_b32 v[v_c], v[v_co_sld] offset:16384
    ds_read_b32 v[v_c+1], v[v_co_sld] offset:17408
    ds_read_b32 v[v_c+2], v[v_co_sld] offset:18432
	;; [unrolled: 1-line block ×7, first 2 shown]
    v_cmpx_eq_u32 vcc, 1, v[v_wei_c_flag]
    ;   store to global, m index start from 0, m0:0, m1:0
    s_waitcnt lgkmcnt(7)
    v_cmp_gt_u32 vcc, s[s_k], v[v_tmp]
    s_and_saveexec_b64 s[s_tmp+4:s_tmp+5], vcc
    buffer_atomic_pk_add_f16_m v[v_c], v[v_wei_os], s[s_p_wei:s_p_wei+3], s[s_tmp] offen offset:0
    s_or_b64 exec, exec, s[s_tmp+4:s_tmp+5]
    s_mul_i32 s[s_tmp], 34, s[s_wei_stride_k]   ; i_m:34(i_m0:0,i_m1:34)
    v_add_u32 v[v_tmp], 34, v[v_cur_k]
    s_waitcnt lgkmcnt(6)
    v_cmp_gt_u32 vcc, s[s_k], v[v_tmp]
    s_and_saveexec_b64 s[s_tmp+4:s_tmp+5], vcc
    buffer_atomic_pk_add_f16_m v[v_c+1], v[v_wei_os], s[s_p_wei:s_p_wei+3], s[s_tmp] offen offset:0
    s_or_b64 exec, exec, s[s_tmp+4:s_tmp+5]
    s_mul_i32 s[s_tmp], 36, s[s_wei_stride_k]   ; i_m:36(i_m0:0,i_m1:36)
    v_add_u32 v[v_tmp], 36, v[v_cur_k]
    s_waitcnt lgkmcnt(5)
    v_cmp_gt_u32 vcc, s[s_k], v[v_tmp]
    s_and_saveexec_b64 s[s_tmp+4:s_tmp+5], vcc
    buffer_atomic_pk_add_f16_m v[v_c+2], v[v_wei_os], s[s_p_wei:s_p_wei+3], s[s_tmp] offen offset:0
	;; [unrolled: 7-line block ×7, first 2 shown]
    s_or_b64 exec, exec, s[s_tmp+4:s_tmp+5]
    s_mul_i32 s[s_tmp], 48, s[s_wei_stride_k]   ; i_m:48(i_m0:0,i_m1:48)
    v_add_u32 v[v_tmp], 48, v[v_cur_k]
    s_mov_b64 exec, -1
    ;   load from lds, i_ssgroup:3, num_sld_per_ssgroup:8
    ds_read_b32 v[v_c], v[v_co_sld] offset:24576
    ds_read_b32 v[v_c+1], v[v_co_sld] offset:25600
    ds_read_b32 v[v_c+2], v[v_co_sld] offset:26624
	;; [unrolled: 1-line block ×7, first 2 shown]
    v_cmpx_eq_u32 vcc, 1, v[v_wei_c_flag]
    ;   store to global, m index start from 0, m0:0, m1:0
    s_waitcnt lgkmcnt(7)
    v_cmp_gt_u32 vcc, s[s_k], v[v_tmp]
    s_and_saveexec_b64 s[s_tmp+4:s_tmp+5], vcc
    buffer_atomic_pk_add_f16_m v[v_c], v[v_wei_os], s[s_p_wei:s_p_wei+3], s[s_tmp] offen offset:0
    s_or_b64 exec, exec, s[s_tmp+4:s_tmp+5]
    s_mul_i32 s[s_tmp], 50, s[s_wei_stride_k]   ; i_m:50(i_m0:0,i_m1:50)
    v_add_u32 v[v_tmp], 50, v[v_cur_k]
    s_waitcnt lgkmcnt(6)
    v_cmp_gt_u32 vcc, s[s_k], v[v_tmp]
    s_and_saveexec_b64 s[s_tmp+4:s_tmp+5], vcc
    buffer_atomic_pk_add_f16_m v[v_c+1], v[v_wei_os], s[s_p_wei:s_p_wei+3], s[s_tmp] offen offset:0
    s_or_b64 exec, exec, s[s_tmp+4:s_tmp+5]
    s_mul_i32 s[s_tmp], 52, s[s_wei_stride_k]   ; i_m:52(i_m0:0,i_m1:52)
    v_add_u32 v[v_tmp], 52, v[v_cur_k]
    s_waitcnt lgkmcnt(5)
    v_cmp_gt_u32 vcc, s[s_k], v[v_tmp]
    s_and_saveexec_b64 s[s_tmp+4:s_tmp+5], vcc
    buffer_atomic_pk_add_f16_m v[v_c+2], v[v_wei_os], s[s_p_wei:s_p_wei+3], s[s_tmp] offen offset:0
	;; [unrolled: 7-line block ×7, first 2 shown]
    s_or_b64 exec, exec, s[s_tmp+4:s_tmp+5]
    s_mov_b64 exec, -1
    ; start group 1, i_g_mr:1, i_g_ms:0, i_g_mw:0, i_g_mb:0, i_g_mt:0, m index start from 64
    s_barrier
    v_cvt_f16_f32_e32 v[v_c], v[a_c+64]
    v_cvt_f16_f32_e32 v[v_c+1], v[a_c+65]
    v_cvt_f16_f32_e32 v[v_c+2], v[a_c+66]
	;; [unrolled: 1-line block ×3, first 2 shown]
    ds_write_b16 v[v_co_sst], v[v_c]  ; idword:0(0,0), 0x0, i_mr:0, i_ms:0, i_mw:0, i_mb:0  x  i_nr:0, i_ns:0, i_nw:0
    ds_write_b16 v[v_co_sst], v[v_c+1] offset:512 ; idword:0(0,0), 0x0, i_mr:0, i_ms:0, i_mw:0, i_mb:0  x  i_nr:0, i_ns:0, i_nw:0
    ds_write_b16 v[v_co_sst], v[v_c+2] offset:1024 ; idword:0(0,0), 0x0, i_mr:0, i_ms:0, i_mw:0, i_mb:0  x  i_nr:0, i_ns:0, i_nw:0
    ds_write_b16 v[v_co_sst], v[v_c+3] offset:1536 ; idword:0(0,0), 0x0, i_mr:0, i_ms:0, i_mw:0, i_mb:0  x  i_nr:0, i_ns:0, i_nw:0
    v_cvt_f16_f32_e32 v[v_c+4], v[a_c+80]
    v_cvt_f16_f32_e32 v[v_c+5], v[a_c+81]
    v_cvt_f16_f32_e32 v[v_c+6], v[a_c+82]
    v_cvt_f16_f32_e32 v[v_c+7], v[a_c+83]
    ds_write_b16 v[v_co_sst], v[v_c+4] offset:64 ; idword:32(0,32), 0x32, i_mr:0, i_ms:0, i_mw:0, i_mb:0  x  i_nr:0, i_ns:1, i_nw:0
    ds_write_b16 v[v_co_sst], v[v_c+5] offset:576 ; idword:32(0,32), 0x32, i_mr:0, i_ms:0, i_mw:0, i_mb:0  x  i_nr:0, i_ns:1, i_nw:0
    ds_write_b16 v[v_co_sst], v[v_c+6] offset:1088 ; idword:32(0,32), 0x32, i_mr:0, i_ms:0, i_mw:0, i_mb:0  x  i_nr:0, i_ns:1, i_nw:0
    ds_write_b16 v[v_co_sst], v[v_c+7] offset:1600 ; idword:32(0,32), 0x32, i_mr:0, i_ms:0, i_mw:0, i_mb:0  x  i_nr:0, i_ns:1, i_nw:0
    v_cvt_f16_f32_e32 v[v_c+8], v[a_c+96]
    v_cvt_f16_f32_e32 v[v_c+9], v[a_c+97]
    v_cvt_f16_f32_e32 v[v_c+10], v[a_c+98]
    v_cvt_f16_f32_e32 v[v_c+11], v[a_c+99]
    ds_write_b16 v[v_co_sst], v[v_c+8] offset:256 ; idword:128(0,128), 0x128, i_mr:0, i_ms:0, i_mw:0, i_mb:0  x  i_nr:1, i_ns:0, i_nw:0
	;; [unrolled: 8-line block ×3, first 2 shown]
    ds_write_b16 v[v_co_sst], v[v_c+13] offset:832 ; idword:160(0,160), 0x160, i_mr:0, i_ms:0, i_mw:0, i_mb:0  x  i_nr:1, i_ns:1, i_nw:0
    ds_write_b16 v[v_co_sst], v[v_c+14] offset:1344 ; idword:160(0,160), 0x160, i_mr:0, i_ms:0, i_mw:0, i_mb:0  x  i_nr:1, i_ns:1, i_nw:0
	;; [unrolled: 1-line block ×3, first 2 shown]
    v_cvt_f16_f32_e32 v[v_c], v[a_c+68]
    v_cvt_f16_f32_e32 v[v_c+1], v[a_c+69]
    v_cvt_f16_f32_e32 v[v_c+2], v[a_c+70]
	;; [unrolled: 1-line block ×3, first 2 shown]
    ds_write_b16 v[v_co_sst], v[v_c] offset:4096 ; idword:2048(8,0), 8x0, i_mr:0, i_ms:0, i_mw:0, i_mb:1  x  i_nr:0, i_ns:0, i_nw:0
    ds_write_b16 v[v_co_sst], v[v_c+1] offset:4608 ; idword:2048(8,0), 8x0, i_mr:0, i_ms:0, i_mw:0, i_mb:1  x  i_nr:0, i_ns:0, i_nw:0
    ds_write_b16 v[v_co_sst], v[v_c+2] offset:5120 ; idword:2048(8,0), 8x0, i_mr:0, i_ms:0, i_mw:0, i_mb:1  x  i_nr:0, i_ns:0, i_nw:0
	;; [unrolled: 1-line block ×3, first 2 shown]
    v_cvt_f16_f32_e32 v[v_c+4], v[a_c+84]
    v_cvt_f16_f32_e32 v[v_c+5], v[a_c+85]
	;; [unrolled: 1-line block ×4, first 2 shown]
    ds_write_b16 v[v_co_sst], v[v_c+4] offset:4160 ; idword:2080(8,32), 8x32, i_mr:0, i_ms:0, i_mw:0, i_mb:1  x  i_nr:0, i_ns:1, i_nw:0
    ds_write_b16 v[v_co_sst], v[v_c+5] offset:4672 ; idword:2080(8,32), 8x32, i_mr:0, i_ms:0, i_mw:0, i_mb:1  x  i_nr:0, i_ns:1, i_nw:0
	;; [unrolled: 1-line block ×4, first 2 shown]
    v_cvt_f16_f32_e32 v[v_c+8], v[a_c+100]
    v_cvt_f16_f32_e32 v[v_c+9], v[a_c+101]
	;; [unrolled: 1-line block ×4, first 2 shown]
    ds_write_b16 v[v_co_sst], v[v_c+8] offset:4352 ; idword:2176(8,128), 8x128, i_mr:0, i_ms:0, i_mw:0, i_mb:1  x  i_nr:1, i_ns:0, i_nw:0
    ds_write_b16 v[v_co_sst], v[v_c+9] offset:4864 ; idword:2176(8,128), 8x128, i_mr:0, i_ms:0, i_mw:0, i_mb:1  x  i_nr:1, i_ns:0, i_nw:0
	;; [unrolled: 1-line block ×4, first 2 shown]
    v_cvt_f16_f32_e32 v[v_c+12], v[a_c+116]
    v_cvt_f16_f32_e32 v[v_c+13], v[a_c+117]
	;; [unrolled: 1-line block ×4, first 2 shown]
    ds_write_b16 v[v_co_sst], v[v_c+12] offset:4416 ; idword:2208(8,160), 8x160, i_mr:0, i_ms:0, i_mw:0, i_mb:1  x  i_nr:1, i_ns:1, i_nw:0
    ds_write_b16 v[v_co_sst], v[v_c+13] offset:4928 ; idword:2208(8,160), 8x160, i_mr:0, i_ms:0, i_mw:0, i_mb:1  x  i_nr:1, i_ns:1, i_nw:0
	;; [unrolled: 1-line block ×4, first 2 shown]
    v_cvt_f16_f32_e32 v[v_c], v[a_c+72]
    v_cvt_f16_f32_e32 v[v_c+1], v[a_c+73]
    v_cvt_f16_f32_e32 v[v_c+2], v[a_c+74]
	;; [unrolled: 1-line block ×3, first 2 shown]
    ds_write_b16 v[v_co_sst], v[v_c] offset:8192 ; idword:4096(16,0), 16x0, i_mr:0, i_ms:0, i_mw:0, i_mb:2  x  i_nr:0, i_ns:0, i_nw:0
    ds_write_b16 v[v_co_sst], v[v_c+1] offset:8704 ; idword:4096(16,0), 16x0, i_mr:0, i_ms:0, i_mw:0, i_mb:2  x  i_nr:0, i_ns:0, i_nw:0
    ds_write_b16 v[v_co_sst], v[v_c+2] offset:9216 ; idword:4096(16,0), 16x0, i_mr:0, i_ms:0, i_mw:0, i_mb:2  x  i_nr:0, i_ns:0, i_nw:0
	;; [unrolled: 1-line block ×3, first 2 shown]
    v_cvt_f16_f32_e32 v[v_c+4], v[a_c+88]
    v_cvt_f16_f32_e32 v[v_c+5], v[a_c+89]
	;; [unrolled: 1-line block ×4, first 2 shown]
    ds_write_b16 v[v_co_sst], v[v_c+4] offset:8256 ; idword:4128(16,32), 16x32, i_mr:0, i_ms:0, i_mw:0, i_mb:2  x  i_nr:0, i_ns:1, i_nw:0
    ds_write_b16 v[v_co_sst], v[v_c+5] offset:8768 ; idword:4128(16,32), 16x32, i_mr:0, i_ms:0, i_mw:0, i_mb:2  x  i_nr:0, i_ns:1, i_nw:0
	;; [unrolled: 1-line block ×4, first 2 shown]
    v_cvt_f16_f32_e32 v[v_c+8], v[a_c+104]
    v_cvt_f16_f32_e32 v[v_c+9], v[a_c+105]
    v_cvt_f16_f32_e32 v[v_c+10], v[a_c+106]
    v_cvt_f16_f32_e32 v[v_c+11], v[a_c+107]
    ds_write_b16 v[v_co_sst], v[v_c+8] offset:8448 ; idword:4224(16,128), 16x128, i_mr:0, i_ms:0, i_mw:0, i_mb:2  x  i_nr:1, i_ns:0, i_nw:0
    ds_write_b16 v[v_co_sst], v[v_c+9] offset:8960 ; idword:4224(16,128), 16x128, i_mr:0, i_ms:0, i_mw:0, i_mb:2  x  i_nr:1, i_ns:0, i_nw:0
	;; [unrolled: 1-line block ×4, first 2 shown]
    v_cvt_f16_f32_e32 v[v_c+12], v[a_c+120]
    v_cvt_f16_f32_e32 v[v_c+13], v[a_c+121]
	;; [unrolled: 1-line block ×4, first 2 shown]
    ds_write_b16 v[v_co_sst], v[v_c+12] offset:8512 ; idword:4256(16,160), 16x160, i_mr:0, i_ms:0, i_mw:0, i_mb:2  x  i_nr:1, i_ns:1, i_nw:0
    ds_write_b16 v[v_co_sst], v[v_c+13] offset:9024 ; idword:4256(16,160), 16x160, i_mr:0, i_ms:0, i_mw:0, i_mb:2  x  i_nr:1, i_ns:1, i_nw:0
	;; [unrolled: 1-line block ×4, first 2 shown]
    v_cvt_f16_f32_e32 v[v_c], v[a_c+76]
    v_cvt_f16_f32_e32 v[v_c+1], v[a_c+77]
    v_cvt_f16_f32_e32 v[v_c+2], v[a_c+78]
	;; [unrolled: 1-line block ×3, first 2 shown]
    ds_write_b16 v[v_co_sst], v[v_c] offset:12288 ; idword:6144(24,0), 24x0, i_mr:0, i_ms:0, i_mw:0, i_mb:3  x  i_nr:0, i_ns:0, i_nw:0
    ds_write_b16 v[v_co_sst], v[v_c+1] offset:12800 ; idword:6144(24,0), 24x0, i_mr:0, i_ms:0, i_mw:0, i_mb:3  x  i_nr:0, i_ns:0, i_nw:0
    ds_write_b16 v[v_co_sst], v[v_c+2] offset:13312 ; idword:6144(24,0), 24x0, i_mr:0, i_ms:0, i_mw:0, i_mb:3  x  i_nr:0, i_ns:0, i_nw:0
    ds_write_b16 v[v_co_sst], v[v_c+3] offset:13824 ; idword:6144(24,0), 24x0, i_mr:0, i_ms:0, i_mw:0, i_mb:3  x  i_nr:0, i_ns:0, i_nw:0
    v_cvt_f16_f32_e32 v[v_c+4], v[a_c+92]
    v_cvt_f16_f32_e32 v[v_c+5], v[a_c+93]
	;; [unrolled: 1-line block ×4, first 2 shown]
    ds_write_b16 v[v_co_sst], v[v_c+4] offset:12352 ; idword:6176(24,32), 24x32, i_mr:0, i_ms:0, i_mw:0, i_mb:3  x  i_nr:0, i_ns:1, i_nw:0
    ds_write_b16 v[v_co_sst], v[v_c+5] offset:12864 ; idword:6176(24,32), 24x32, i_mr:0, i_ms:0, i_mw:0, i_mb:3  x  i_nr:0, i_ns:1, i_nw:0
	;; [unrolled: 1-line block ×4, first 2 shown]
    v_cvt_f16_f32_e32 v[v_c+8], v[a_c+108]
    v_cvt_f16_f32_e32 v[v_c+9], v[a_c+109]
	;; [unrolled: 1-line block ×4, first 2 shown]
    ds_write_b16 v[v_co_sst], v[v_c+8] offset:12544 ; idword:6272(24,128), 24x128, i_mr:0, i_ms:0, i_mw:0, i_mb:3  x  i_nr:1, i_ns:0, i_nw:0
    ds_write_b16 v[v_co_sst], v[v_c+9] offset:13056 ; idword:6272(24,128), 24x128, i_mr:0, i_ms:0, i_mw:0, i_mb:3  x  i_nr:1, i_ns:0, i_nw:0
	;; [unrolled: 1-line block ×4, first 2 shown]
    v_cvt_f16_f32_e32 v[v_c+12], v[a_c+124]
    v_cvt_f16_f32_e32 v[v_c+13], v[a_c+125]
	;; [unrolled: 1-line block ×4, first 2 shown]
    ds_write_b16 v[v_co_sst], v[v_c+12] offset:12608 ; idword:6304(24,160), 24x160, i_mr:0, i_ms:0, i_mw:0, i_mb:3  x  i_nr:1, i_ns:1, i_nw:0
    ds_write_b16 v[v_co_sst], v[v_c+13] offset:13120 ; idword:6304(24,160), 24x160, i_mr:0, i_ms:0, i_mw:0, i_mb:3  x  i_nr:1, i_ns:1, i_nw:0
	;; [unrolled: 1-line block ×4, first 2 shown]
    s_mul_i32 s[s_tmp], 64, s[s_wei_stride_k]   ; i_m:64(i_m0:0,i_m1:64)
    v_add_u32 v[v_tmp], 64, v[v_cur_k]
    s_waitcnt lgkmcnt(0)
    s_barrier
    ;   load from lds, i_ssgroup:0, num_sld_per_ssgroup:8
    ds_read_b32 v[v_c], v[v_co_sld] offset:0
    ds_read_b32 v[v_c+1], v[v_co_sld] offset:1024
    ds_read_b32 v[v_c+2], v[v_co_sld] offset:2048
	;; [unrolled: 1-line block ×7, first 2 shown]
    v_cmpx_eq_u32 vcc, 1, v[v_wei_c_flag]
    ;   store to global, m index start from 64, m0:0, m1:64
    s_waitcnt lgkmcnt(7)
    v_cmp_gt_u32 vcc, s[s_k], v[v_tmp]
    s_and_saveexec_b64 s[s_tmp+4:s_tmp+5], vcc
    buffer_atomic_pk_add_f16_m v[v_c], v[v_wei_os], s[s_p_wei:s_p_wei+3], s[s_tmp] offen offset:0
    s_or_b64 exec, exec, s[s_tmp+4:s_tmp+5]
    s_mul_i32 s[s_tmp], 66, s[s_wei_stride_k]   ; i_m:66(i_m0:0,i_m1:66)
    v_add_u32 v[v_tmp], 66, v[v_cur_k]
    s_waitcnt lgkmcnt(6)
    v_cmp_gt_u32 vcc, s[s_k], v[v_tmp]
    s_and_saveexec_b64 s[s_tmp+4:s_tmp+5], vcc
    buffer_atomic_pk_add_f16_m v[v_c+1], v[v_wei_os], s[s_p_wei:s_p_wei+3], s[s_tmp] offen offset:0
    s_or_b64 exec, exec, s[s_tmp+4:s_tmp+5]
    s_mul_i32 s[s_tmp], 68, s[s_wei_stride_k]   ; i_m:68(i_m0:0,i_m1:68)
    v_add_u32 v[v_tmp], 68, v[v_cur_k]
    s_waitcnt lgkmcnt(5)
    v_cmp_gt_u32 vcc, s[s_k], v[v_tmp]
    s_and_saveexec_b64 s[s_tmp+4:s_tmp+5], vcc
    buffer_atomic_pk_add_f16_m v[v_c+2], v[v_wei_os], s[s_p_wei:s_p_wei+3], s[s_tmp] offen offset:0
	;; [unrolled: 7-line block ×7, first 2 shown]
    s_or_b64 exec, exec, s[s_tmp+4:s_tmp+5]
    s_mul_i32 s[s_tmp], 80, s[s_wei_stride_k]   ; i_m:80(i_m0:0,i_m1:80)
    v_add_u32 v[v_tmp], 80, v[v_cur_k]
    s_mov_b64 exec, -1
    ;   load from lds, i_ssgroup:1, num_sld_per_ssgroup:8
    ds_read_b32 v[v_c], v[v_co_sld] offset:8192
    ds_read_b32 v[v_c+1], v[v_co_sld] offset:9216
    ds_read_b32 v[v_c+2], v[v_co_sld] offset:10240
	;; [unrolled: 1-line block ×7, first 2 shown]
    v_cmpx_eq_u32 vcc, 1, v[v_wei_c_flag]
    ;   store to global, m index start from 64, m0:0, m1:64
    s_waitcnt lgkmcnt(7)
    v_cmp_gt_u32 vcc, s[s_k], v[v_tmp]
    s_and_saveexec_b64 s[s_tmp+4:s_tmp+5], vcc
    buffer_atomic_pk_add_f16_m v[v_c], v[v_wei_os], s[s_p_wei:s_p_wei+3], s[s_tmp] offen offset:0
    s_or_b64 exec, exec, s[s_tmp+4:s_tmp+5]
    s_mul_i32 s[s_tmp], 82, s[s_wei_stride_k]   ; i_m:82(i_m0:0,i_m1:82)
    v_add_u32 v[v_tmp], 82, v[v_cur_k]
    s_waitcnt lgkmcnt(6)
    v_cmp_gt_u32 vcc, s[s_k], v[v_tmp]
    s_and_saveexec_b64 s[s_tmp+4:s_tmp+5], vcc
    buffer_atomic_pk_add_f16_m v[v_c+1], v[v_wei_os], s[s_p_wei:s_p_wei+3], s[s_tmp] offen offset:0
    s_or_b64 exec, exec, s[s_tmp+4:s_tmp+5]
    s_mul_i32 s[s_tmp], 84, s[s_wei_stride_k]   ; i_m:84(i_m0:0,i_m1:84)
    v_add_u32 v[v_tmp], 84, v[v_cur_k]
    s_waitcnt lgkmcnt(5)
    v_cmp_gt_u32 vcc, s[s_k], v[v_tmp]
    s_and_saveexec_b64 s[s_tmp+4:s_tmp+5], vcc
    buffer_atomic_pk_add_f16_m v[v_c+2], v[v_wei_os], s[s_p_wei:s_p_wei+3], s[s_tmp] offen offset:0
	;; [unrolled: 7-line block ×7, first 2 shown]
    s_or_b64 exec, exec, s[s_tmp+4:s_tmp+5]
    s_mul_i32 s[s_tmp], 96, s[s_wei_stride_k]   ; i_m:96(i_m0:0,i_m1:96)
    v_add_u32 v[v_tmp], 96, v[v_cur_k]
    s_mov_b64 exec, -1
    ;   load from lds, i_ssgroup:2, num_sld_per_ssgroup:8
    ds_read_b32 v[v_c], v[v_co_sld] offset:16384
    ds_read_b32 v[v_c+1], v[v_co_sld] offset:17408
    ds_read_b32 v[v_c+2], v[v_co_sld] offset:18432
	;; [unrolled: 1-line block ×7, first 2 shown]
    v_cmpx_eq_u32 vcc, 1, v[v_wei_c_flag]
    ;   store to global, m index start from 64, m0:0, m1:64
    s_waitcnt lgkmcnt(7)
    v_cmp_gt_u32 vcc, s[s_k], v[v_tmp]
    s_and_saveexec_b64 s[s_tmp+4:s_tmp+5], vcc
    buffer_atomic_pk_add_f16_m v[v_c], v[v_wei_os], s[s_p_wei:s_p_wei+3], s[s_tmp] offen offset:0
    s_or_b64 exec, exec, s[s_tmp+4:s_tmp+5]
    s_mul_i32 s[s_tmp], 98, s[s_wei_stride_k]   ; i_m:98(i_m0:0,i_m1:98)
    v_add_u32 v[v_tmp], 98, v[v_cur_k]
    s_waitcnt lgkmcnt(6)
    v_cmp_gt_u32 vcc, s[s_k], v[v_tmp]
    s_and_saveexec_b64 s[s_tmp+4:s_tmp+5], vcc
    buffer_atomic_pk_add_f16_m v[v_c+1], v[v_wei_os], s[s_p_wei:s_p_wei+3], s[s_tmp] offen offset:0
    s_or_b64 exec, exec, s[s_tmp+4:s_tmp+5]
    s_mul_i32 s[s_tmp], 100, s[s_wei_stride_k]   ; i_m:100(i_m0:0,i_m1:100)
    v_add_u32 v[v_tmp], 100, v[v_cur_k]
    s_waitcnt lgkmcnt(5)
    v_cmp_gt_u32 vcc, s[s_k], v[v_tmp]
    s_and_saveexec_b64 s[s_tmp+4:s_tmp+5], vcc
    buffer_atomic_pk_add_f16_m v[v_c+2], v[v_wei_os], s[s_p_wei:s_p_wei+3], s[s_tmp] offen offset:0
	;; [unrolled: 7-line block ×7, first 2 shown]
    s_or_b64 exec, exec, s[s_tmp+4:s_tmp+5]
    s_mul_i32 s[s_tmp], 112, s[s_wei_stride_k]   ; i_m:112(i_m0:0,i_m1:112)
    v_add_u32 v[v_tmp], 112, v[v_cur_k]
    s_mov_b64 exec, -1
    ;   load from lds, i_ssgroup:3, num_sld_per_ssgroup:8
    ds_read_b32 v[v_c], v[v_co_sld] offset:24576
    ds_read_b32 v[v_c+1], v[v_co_sld] offset:25600
    ds_read_b32 v[v_c+2], v[v_co_sld] offset:26624
	;; [unrolled: 1-line block ×7, first 2 shown]
    v_cmpx_eq_u32 vcc, 1, v[v_wei_c_flag]
    ;   store to global, m index start from 64, m0:0, m1:64
    s_waitcnt lgkmcnt(7)
    v_cmp_gt_u32 vcc, s[s_k], v[v_tmp]
    s_and_saveexec_b64 s[s_tmp+4:s_tmp+5], vcc
    buffer_atomic_pk_add_f16_m v[v_c], v[v_wei_os], s[s_p_wei:s_p_wei+3], s[s_tmp] offen offset:0
    s_or_b64 exec, exec, s[s_tmp+4:s_tmp+5]
    s_mul_i32 s[s_tmp], 114, s[s_wei_stride_k]   ; i_m:114(i_m0:0,i_m1:114)
    v_add_u32 v[v_tmp], 114, v[v_cur_k]
    s_waitcnt lgkmcnt(6)
    v_cmp_gt_u32 vcc, s[s_k], v[v_tmp]
    s_and_saveexec_b64 s[s_tmp+4:s_tmp+5], vcc
    buffer_atomic_pk_add_f16_m v[v_c+1], v[v_wei_os], s[s_p_wei:s_p_wei+3], s[s_tmp] offen offset:0
    s_or_b64 exec, exec, s[s_tmp+4:s_tmp+5]
    s_mul_i32 s[s_tmp], 116, s[s_wei_stride_k]   ; i_m:116(i_m0:0,i_m1:116)
    v_add_u32 v[v_tmp], 116, v[v_cur_k]
    s_waitcnt lgkmcnt(5)
    v_cmp_gt_u32 vcc, s[s_k], v[v_tmp]
    s_and_saveexec_b64 s[s_tmp+4:s_tmp+5], vcc
    buffer_atomic_pk_add_f16_m v[v_c+2], v[v_wei_os], s[s_p_wei:s_p_wei+3], s[s_tmp] offen offset:0
	;; [unrolled: 7-line block ×7, first 2 shown]
    s_or_b64 exec, exec, s[s_tmp+4:s_tmp+5]
    s_mov_b64 exec, -1

L_igemm_wrw_gtcx3_nhwc_fp16_bx0_ex0_bt128x256x16_wt32x32x8_ws1x2_wr2x2_ta1x4x1x2_1x4x1x64_tb1x4x1x4_1x4x1x64_gkgs_out:
    s_endpgm
.rodata
.p2align 6
.amdhsa_kernel igemm_wrw_gtcx3_nhwc_fp16_bx0_ex0_bt128x256x16_wt32x32x8_ws1x2_wr2x2_ta1x4x1x2_1x4x1x64_tb1x4x1x4_1x4x1x64_gkgs
    .amdhsa_group_segment_fixed_size 32768
    .amdhsa_user_sgpr_kernarg_segment_ptr 1
    .amdhsa_system_sgpr_workgroup_id_x 1
    .amdhsa_system_sgpr_workgroup_id_y 1
    .amdhsa_system_sgpr_workgroup_id_z 1
    .amdhsa_system_vgpr_workitem_id 0
    .amdhsa_next_free_vgpr 220
    .amdhsa_next_free_sgpr 78
    .amdhsa_ieee_mode 1
    .amdhsa_dx10_clamp 1
    .amdhsa_float_round_mode_32 3
    .amdhsa_float_round_mode_16_64 3
    .amdhsa_tg_split 0
    .amdhsa_accum_offset 92
.end_amdhsa_kernel

.amdgpu_metadata
---
amdhsa.version: [ 1, 0 ]
amdhsa.kernels:
  - .name: igemm_wrw_gtcx3_nhwc_fp16_bx0_ex0_bt128x256x16_wt32x32x8_ws1x2_wr2x2_ta1x4x1x2_1x4x1x64_tb1x4x1x4_1x4x1x64_gkgs
    .symbol: igemm_wrw_gtcx3_nhwc_fp16_bx0_ex0_bt128x256x16_wt32x32x8_ws1x2_wr2x2_ta1x4x1x2_1x4x1x64_tb1x4x1x4_1x4x1x64_gkgs.kd
    .sgpr_count: 84
    .vgpr_count: 220
    .kernarg_segment_align: 8
    .kernarg_segment_size: 96
    .group_segment_fixed_size: 32768
    .private_segment_fixed_size: 0
    .wavefront_size: 64
    .reqd_workgroup_size : [256, 1, 1]
    .max_flat_workgroup_size: 256
    .args:
    - { .name: p_in_     , .size: 8, .offset:   0, .value_kind: global_buffer, .value_type: f32, .address_space: global, .is_const: false}
    - { .name: p_wei_    , .size: 8, .offset:   8, .value_kind: global_buffer, .value_type: f32, .address_space: global, .is_const: true}
    - { .name: p_out_    , .size: 8, .offset:  16, .value_kind: global_buffer, .value_type: f32, .address_space: global, .is_const: true}
    - { .name: hi_       , .size: 4, .offset:  24, .value_kind: by_value, .value_type: i32}
    - { .name: wi_       , .size: 4, .offset:  28, .value_kind: by_value, .value_type: i32}
    - { .name: n_        , .size: 4, .offset:  32, .value_kind: by_value, .value_type: i32}
    - { .name: k_        , .size: 4, .offset:  36, .value_kind: by_value, .value_type: i32}
    - { .name: c_        , .size: 4, .offset:  40, .value_kind: by_value, .value_type: i32}
    - { .name: ho_       , .size: 4, .offset:  44, .value_kind: by_value, .value_type: i32}
    - { .name: wo_       , .size: 4, .offset:  48, .value_kind: by_value, .value_type: i32}
    - { .name: stride_h_ , .size: 4, .offset:  52, .value_kind: by_value, .value_type: i32}
    - { .name: stride_w_ , .size: 4, .offset:  56, .value_kind: by_value, .value_type: i32}
    - { .name: dilation_h_, .size: 4, .offset:  60, .value_kind: by_value, .value_type: i32}
    - { .name: dilation_w_, .size: 4, .offset:  64, .value_kind: by_value, .value_type: i32}
    - { .name: pad_h_    , .size: 4, .offset:  68, .value_kind: by_value, .value_type: i32}
    - { .name: pad_w_    , .size: 4, .offset:  72, .value_kind: by_value, .value_type: i32}
    - { .name: y_        , .size: 4, .offset:  76, .value_kind: by_value, .value_type: i32}
    - { .name: x_        , .size: 4, .offset:  80, .value_kind: by_value, .value_type: i32}
    - { .name: gemm_k_global_split_, .size: 4, .offset:  84, .value_kind: by_value, .value_type: i32}
    - { .name: group_    , .size: 4, .offset:  88, .value_kind: by_value, .value_type: i32}
    - { .name: __pack_0_ , .size: 4, .offset:  92, .value_kind: by_value, .value_type: i32}
...
.end_amdgpu_metadata
